;; amdgpu-corpus repo=zjin-lcf/HeCBench kind=compiled arch=gfx950 opt=O3
	.amdgcn_target "amdgcn-amd-amdhsa--gfx950"
	.amdhsa_code_object_version 6
	.text
	.protected	_Z9make_backPK11dsu3_matrixS1_PKmS3_PS_S4_i ; -- Begin function _Z9make_backPK11dsu3_matrixS1_PKmS3_PS_S4_i
	.globl	_Z9make_backPK11dsu3_matrixS1_PKmS3_PS_S4_i
	.p2align	8
	.type	_Z9make_backPK11dsu3_matrixS1_PKmS3_PS_S4_i,@function
_Z9make_backPK11dsu3_matrixS1_PKmS3_PS_S4_i: ; @_Z9make_backPK11dsu3_matrixS1_PKmS3_PS_S4_i
; %bb.0:
	s_load_dword s4, s[0:1], 0x30
	s_load_dword s3, s[0:1], 0x44
	v_mov_b32_e32 v5, 0
	s_waitcnt lgkmcnt(0)
	s_ashr_i32 s5, s4, 31
	s_and_b32 s3, s3, 0xffff
	s_mul_i32 s2, s2, s3
	v_add_u32_e32 v4, s2, v0
	v_cmp_gt_u64_e32 vcc, s[4:5], v[4:5]
	s_and_saveexec_b64 s[2:3], vcc
	s_cbranch_execz .LBB0_3
; %bb.1:
	s_load_dwordx4 s[12:15], s[0:1], 0x20
	s_load_dwordx8 s[4:11], s[0:1], 0x0
	v_lshlrev_b32_e32 v6, 2, v4
	s_movk_i32 s2, 0x90
	v_lshrrev_b32_e32 v7, 30, v4
	s_waitcnt lgkmcnt(0)
	v_mov_b64_e32 v[0:1], s[12:13]
	v_mov_b64_e32 v[2:3], s[14:15]
	v_mad_u64_u32 v[0:1], s[0:1], v6, s2, v[0:1]
	v_mad_u64_u32 v[2:3], s[0:1], v6, s2, v[2:3]
	v_mad_u32_u24 v1, v7, s2, v1
	v_mad_u32_u24 v3, v7, s2, v3
	v_lshlrev_b64 v[6:7], 5, v[4:5]
	v_lshl_add_u64 v[4:5], s[10:11], 0, v[6:7]
	v_lshl_add_u64 v[6:7], s[8:9], 0, v[6:7]
	s_mov_b64 s[0:1], 0
	s_movk_i32 s2, 0x240
.LBB0_2:                                ; =>This Inner Loop Header: Depth=1
	global_load_dwordx2 v[10:11], v[6:7], off
	global_load_dwordx2 v[12:13], v[4:5], off
	s_add_u32 s8, s4, s0
	s_addc_u32 s9, s5, s1
	v_mov_b64_e32 v[14:15], s[8:9]
	s_add_u32 s8, s6, s0
	s_addc_u32 s9, s7, s1
	v_mov_b64_e32 v[16:17], s[8:9]
	v_lshl_add_u64 v[8:9], v[0:1], 0, s[0:1]
	v_lshl_add_u64 v[4:5], v[4:5], 0, 8
	v_lshl_add_u64 v[6:7], v[6:7], 0, 8
	s_waitcnt vmcnt(1)
	v_mad_u64_u32 v[58:59], s[8:9], v10, s2, v[14:15]
	s_waitcnt vmcnt(0)
	v_mad_u64_u32 v[60:61], s[8:9], v12, s2, v[16:17]
	v_mov_b32_e32 v10, v59
	v_mov_b32_e32 v12, v61
	v_mad_u64_u32 v[10:11], s[8:9], v11, s2, v[10:11]
	v_mad_u64_u32 v[12:13], s[8:9], v13, s2, v[12:13]
	v_mov_b32_e32 v59, v10
	v_mov_b32_e32 v61, v12
	global_load_dwordx4 v[10:13], v[58:59], off
	global_load_dwordx4 v[14:17], v[58:59], off offset:48
	global_load_dwordx4 v[18:21], v[58:59], off offset:96
	global_load_dwordx4 v[22:25], v[58:59], off offset:16
	global_load_dwordx4 v[26:29], v[58:59], off offset:64
	global_load_dwordx4 v[30:33], v[58:59], off offset:112
	global_load_dwordx4 v[34:37], v[58:59], off offset:32
	global_load_dwordx4 v[38:41], v[58:59], off offset:80
	global_load_dwordx4 v[42:45], v[58:59], off offset:128
	global_load_dwordx4 v[46:49], v[60:61], off offset:16
	global_load_dwordx4 v[50:53], v[60:61], off offset:32
	global_load_dwordx4 v[54:57], v[60:61], off offset:48
	v_lshl_add_u64 v[58:59], v[2:3], 0, s[0:1]
	s_add_u32 s0, s0, 0x90
	s_addc_u32 s1, s1, 0
	s_cmpk_lg_i32 s0, 0x240
	s_waitcnt vmcnt(11)
	v_xor_b32_e32 v13, 0x80000000, v13
	s_waitcnt vmcnt(10)
	v_xor_b32_e32 v17, 0x80000000, v17
	;; [unrolled: 2-line block ×6, first 2 shown]
	global_store_dwordx4 v[8:9], v[10:13], off
	global_load_dwordx4 v[10:13], v[60:61], off
	s_waitcnt vmcnt(7)
	v_xor_b32_e32 v37, 0x80000000, v37
	global_store_dwordx4 v[8:9], v[14:17], off offset:16
	global_load_dwordx4 v[14:17], v[60:61], off offset:80
	s_waitcnt vmcnt(8)
	v_xor_b32_e32 v41, 0x80000000, v41
	global_store_dwordx4 v[8:9], v[18:21], off offset:32
	global_load_dwordx4 v[18:21], v[60:61], off offset:64
	s_waitcnt vmcnt(9)
	v_xor_b32_e32 v45, 0x80000000, v45
	global_store_dwordx4 v[8:9], v[22:25], off offset:48
	global_load_dwordx4 v[22:25], v[60:61], off offset:96
	s_waitcnt vmcnt(8)
	v_xor_b32_e32 v57, 0x80000000, v57
	global_store_dwordx4 v[8:9], v[26:29], off offset:64
	global_load_dwordx4 v[26:29], v[60:61], off offset:112
	v_xor_b32_e32 v49, 0x80000000, v49
	global_store_dwordx4 v[8:9], v[30:33], off offset:80
	global_load_dwordx4 v[30:33], v[60:61], off offset:128
	v_xor_b32_e32 v53, 0x80000000, v53
	s_waitcnt vmcnt(10)
	v_xor_b32_e32 v13, 0x80000000, v13
	s_waitcnt vmcnt(8)
	;; [unrolled: 2-line block ×6, first 2 shown]
	v_xor_b32_e32 v33, 0x80000000, v33
	global_store_dwordx4 v[8:9], v[34:37], off offset:96
	global_store_dwordx4 v[8:9], v[38:41], off offset:112
	;; [unrolled: 1-line block ×3, first 2 shown]
	global_store_dwordx4 v[58:59], v[10:13], off
	global_store_dwordx4 v[58:59], v[54:57], off offset:16
	global_store_dwordx4 v[58:59], v[22:25], off offset:32
	;; [unrolled: 1-line block ×8, first 2 shown]
	s_cbranch_scc1 .LBB0_2
.LBB0_3:
	s_endpgm
	.section	.rodata,"a",@progbits
	.p2align	6, 0x0
	.amdhsa_kernel _Z9make_backPK11dsu3_matrixS1_PKmS3_PS_S4_i
		.amdhsa_group_segment_fixed_size 0
		.amdhsa_private_segment_fixed_size 0
		.amdhsa_kernarg_size 312
		.amdhsa_user_sgpr_count 2
		.amdhsa_user_sgpr_dispatch_ptr 0
		.amdhsa_user_sgpr_queue_ptr 0
		.amdhsa_user_sgpr_kernarg_segment_ptr 1
		.amdhsa_user_sgpr_dispatch_id 0
		.amdhsa_user_sgpr_kernarg_preload_length 0
		.amdhsa_user_sgpr_kernarg_preload_offset 0
		.amdhsa_user_sgpr_private_segment_size 0
		.amdhsa_uses_dynamic_stack 0
		.amdhsa_enable_private_segment 0
		.amdhsa_system_sgpr_workgroup_id_x 1
		.amdhsa_system_sgpr_workgroup_id_y 0
		.amdhsa_system_sgpr_workgroup_id_z 0
		.amdhsa_system_sgpr_workgroup_info 0
		.amdhsa_system_vgpr_workitem_id 0
		.amdhsa_next_free_vgpr 62
		.amdhsa_next_free_sgpr 16
		.amdhsa_accum_offset 64
		.amdhsa_reserve_vcc 1
		.amdhsa_float_round_mode_32 0
		.amdhsa_float_round_mode_16_64 0
		.amdhsa_float_denorm_mode_32 3
		.amdhsa_float_denorm_mode_16_64 3
		.amdhsa_dx10_clamp 1
		.amdhsa_ieee_mode 1
		.amdhsa_fp16_overflow 0
		.amdhsa_tg_split 0
		.amdhsa_exception_fp_ieee_invalid_op 0
		.amdhsa_exception_fp_denorm_src 0
		.amdhsa_exception_fp_ieee_div_zero 0
		.amdhsa_exception_fp_ieee_overflow 0
		.amdhsa_exception_fp_ieee_underflow 0
		.amdhsa_exception_fp_ieee_inexact 0
		.amdhsa_exception_int_div_zero 0
	.end_amdhsa_kernel
	.text
.Lfunc_end0:
	.size	_Z9make_backPK11dsu3_matrixS1_PKmS3_PS_S4_i, .Lfunc_end0-_Z9make_backPK11dsu3_matrixS1_PKmS3_PS_S4_i
                                        ; -- End function
	.set _Z9make_backPK11dsu3_matrixS1_PKmS3_PS_S4_i.num_vgpr, 62
	.set _Z9make_backPK11dsu3_matrixS1_PKmS3_PS_S4_i.num_agpr, 0
	.set _Z9make_backPK11dsu3_matrixS1_PKmS3_PS_S4_i.numbered_sgpr, 16
	.set _Z9make_backPK11dsu3_matrixS1_PKmS3_PS_S4_i.num_named_barrier, 0
	.set _Z9make_backPK11dsu3_matrixS1_PKmS3_PS_S4_i.private_seg_size, 0
	.set _Z9make_backPK11dsu3_matrixS1_PKmS3_PS_S4_i.uses_vcc, 1
	.set _Z9make_backPK11dsu3_matrixS1_PKmS3_PS_S4_i.uses_flat_scratch, 0
	.set _Z9make_backPK11dsu3_matrixS1_PKmS3_PS_S4_i.has_dyn_sized_stack, 0
	.set _Z9make_backPK11dsu3_matrixS1_PKmS3_PS_S4_i.has_recursion, 0
	.set _Z9make_backPK11dsu3_matrixS1_PKmS3_PS_S4_i.has_indirect_call, 0
	.section	.AMDGPU.csdata,"",@progbits
; Kernel info:
; codeLenInByte = 808
; TotalNumSgprs: 22
; NumVgprs: 62
; NumAgprs: 0
; TotalNumVgprs: 62
; ScratchSize: 0
; MemoryBound: 1
; FloatMode: 240
; IeeeMode: 1
; LDSByteSize: 0 bytes/workgroup (compile time only)
; SGPRBlocks: 2
; VGPRBlocks: 7
; NumSGPRsForWavesPerEU: 22
; NumVGPRsForWavesPerEU: 62
; AccumOffset: 64
; Occupancy: 8
; WaveLimiterHint : 1
; COMPUTE_PGM_RSRC2:SCRATCH_EN: 0
; COMPUTE_PGM_RSRC2:USER_SGPR: 2
; COMPUTE_PGM_RSRC2:TRAP_HANDLER: 0
; COMPUTE_PGM_RSRC2:TGID_X_EN: 1
; COMPUTE_PGM_RSRC2:TGID_Y_EN: 0
; COMPUTE_PGM_RSRC2:TGID_Z_EN: 0
; COMPUTE_PGM_RSRC2:TIDIG_COMP_CNT: 0
; COMPUTE_PGM_RSRC3_GFX90A:ACCUM_OFFSET: 15
; COMPUTE_PGM_RSRC3_GFX90A:TG_SPLIT: 0
	.text
	.protected	_Z6dslashPK11dsu3_matrixS1_S1_S1_PK11dsu3_vectorPS2_PKmS7_S7_S7_i ; -- Begin function _Z6dslashPK11dsu3_matrixS1_S1_S1_PK11dsu3_vectorPS2_PKmS7_S7_S7_i
	.globl	_Z6dslashPK11dsu3_matrixS1_S1_S1_PK11dsu3_vectorPS2_PKmS7_S7_S7_i
	.p2align	8
	.type	_Z6dslashPK11dsu3_matrixS1_S1_S1_PK11dsu3_vectorPS2_PKmS7_S7_S7_i,@function
_Z6dslashPK11dsu3_matrixS1_S1_S1_PK11dsu3_vectorPS2_PKmS7_S7_S7_i: ; @_Z6dslashPK11dsu3_matrixS1_S1_S1_PK11dsu3_vectorPS2_PKmS7_S7_S7_i
; %bb.0:
	s_load_dword s4, s[0:1], 0x50
	s_load_dword s3, s[0:1], 0x64
	v_mov_b32_e32 v1, 0
	s_waitcnt lgkmcnt(0)
	s_ashr_i32 s5, s4, 31
	s_and_b32 s3, s3, 0xffff
	s_mul_i32 s2, s2, s3
	v_add_u32_e32 v0, s2, v0
	v_cmp_gt_u64_e32 vcc, s[4:5], v[0:1]
	s_and_saveexec_b64 s[2:3], vcc
	s_cbranch_execz .LBB1_2
; %bb.1:
	s_load_dwordx4 s[20:23], s[0:1], 0x40
	s_load_dwordx8 s[12:19], s[0:1], 0x0
	s_load_dwordx8 s[4:11], s[0:1], 0x20
	v_lshlrev_b64 v[52:53], 5, v[0:1]
	v_lshlrev_b32_e32 v64, 2, v0
	s_movk_i32 s0, 0x90
	s_waitcnt lgkmcnt(0)
	v_mov_b64_e32 v[2:3], s[12:13]
	v_lshl_add_u64 v[8:9], s[8:9], 0, v[52:53]
	v_mad_u64_u32 v[32:33], s[2:3], v64, s0, v[2:3]
	v_lshrrev_b32_e32 v65, 30, v0
	v_mad_u64_u32 v[50:51], s[2:3], v0, 48, s[6:7]
	global_load_dwordx4 v[0:3], v[8:9], off offset:16
	global_load_dwordx4 v[4:7], v[8:9], off
	v_mad_u32_u24 v33, v65, s0, v33
	s_waitcnt vmcnt(0)
	v_mad_u64_u32 v[38:39], s[2:3], v4, 48, s[4:5]
	v_mov_b32_e32 v4, v39
	v_mad_u64_u32 v[4:5], s[2:3], v5, 48, v[4:5]
	v_mov_b32_e32 v39, v4
	global_load_dwordx4 v[12:15], v[32:33], off offset:48
	global_load_dwordx4 v[28:31], v[32:33], off offset:32
	;; [unrolled: 1-line block ×3, first 2 shown]
	global_load_dwordx4 v[34:37], v[32:33], off
	global_load_dwordx4 v[8:11], v[38:39], off offset:32
	global_load_dwordx4 v[16:19], v[38:39], off offset:16
	global_load_dwordx4 v[24:27], v[38:39], off
	s_waitcnt vmcnt(0)
	v_mul_f64 v[4:5], v[36:37], v[26:27]
	v_fma_f64 v[4:5], v[34:35], v[24:25], -v[4:5]
	v_mul_f64 v[34:35], v[34:35], v[26:27]
	v_fmac_f64_e32 v[34:35], v[24:25], v[36:37]
	v_mul_f64 v[36:37], v[22:23], v[18:19]
	v_fma_f64 v[36:37], v[20:21], v[16:17], -v[36:37]
	v_mul_f64 v[20:21], v[20:21], v[18:19]
	v_add_f64 v[34:35], v[34:35], 0
	v_fmac_f64_e32 v[20:21], v[16:17], v[22:23]
	v_add_f64 v[4:5], v[4:5], 0
	v_add_f64 v[22:23], v[34:35], v[20:21]
	v_mul_f64 v[20:21], v[30:31], v[10:11]
	v_add_f64 v[4:5], v[4:5], v[36:37]
	v_fma_f64 v[20:21], v[28:29], v[8:9], -v[20:21]
	v_add_f64 v[20:21], v[4:5], v[20:21]
	v_mul_f64 v[4:5], v[28:29], v[10:11]
	v_fmac_f64_e32 v[4:5], v[8:9], v[30:31]
	v_add_f64 v[22:23], v[22:23], v[4:5]
	v_mul_f64 v[4:5], v[26:27], v[14:15]
	v_mul_f64 v[14:15], v[24:25], v[14:15]
	global_store_dwordx4 v[50:51], v[20:23], off
	v_fmac_f64_e32 v[14:15], v[26:27], v[12:13]
	v_fma_f64 v[4:5], v[24:25], v[12:13], -v[4:5]
	v_add_f64 v[42:43], v[14:15], 0
	global_load_dwordx4 v[28:31], v[32:33], off offset:112
	global_load_dwordx4 v[34:37], v[32:33], off offset:96
	;; [unrolled: 1-line block ×4, first 2 shown]
	v_add_f64 v[4:5], v[4:5], 0
	s_waitcnt vmcnt(0)
	v_mul_f64 v[44:45], v[18:19], v[14:15]
	v_mul_f64 v[14:15], v[16:17], v[14:15]
	v_fma_f64 v[44:45], v[16:17], v[12:13], -v[44:45]
	v_fmac_f64_e32 v[14:15], v[18:19], v[12:13]
	v_mul_f64 v[12:13], v[10:11], v[40:41]
	v_add_f64 v[4:5], v[4:5], v[44:45]
	v_fma_f64 v[12:13], v[8:9], v[38:39], -v[12:13]
	v_add_f64 v[12:13], v[4:5], v[12:13]
	v_mul_f64 v[4:5], v[8:9], v[40:41]
	v_add_f64 v[14:15], v[42:43], v[14:15]
	v_fmac_f64_e32 v[4:5], v[10:11], v[38:39]
	v_add_f64 v[14:15], v[14:15], v[4:5]
	v_mul_f64 v[4:5], v[26:27], v[36:37]
	v_fma_f64 v[4:5], v[24:25], v[34:35], -v[4:5]
	v_mul_f64 v[24:25], v[24:25], v[36:37]
	v_fmac_f64_e32 v[24:25], v[26:27], v[34:35]
	v_mul_f64 v[26:27], v[18:19], v[30:31]
	v_fma_f64 v[26:27], v[16:17], v[28:29], -v[26:27]
	v_mul_f64 v[16:17], v[16:17], v[30:31]
	global_store_dwordx4 v[50:51], v[12:15], off offset:16
	v_add_f64 v[4:5], v[4:5], 0
	v_add_f64 v[24:25], v[24:25], 0
	v_fmac_f64_e32 v[16:17], v[18:19], v[28:29]
	v_add_f64 v[4:5], v[4:5], v[26:27]
	v_add_f64 v[40:41], v[24:25], v[16:17]
	global_load_dwordx4 v[24:27], v[32:33], off offset:176
	global_load_dwordx4 v[28:31], v[32:33], off offset:160
	global_load_dwordx4 v[34:37], v[32:33], off offset:144
	global_load_dwordx4 v[16:19], v[32:33], off offset:128
	v_mad_u64_u32 v[42:43], s[2:3], v6, 48, s[4:5]
	s_waitcnt vmcnt(0)
	v_mul_f64 v[38:39], v[10:11], v[18:19]
	v_fma_f64 v[38:39], v[8:9], v[16:17], -v[38:39]
	v_add_f64 v[38:39], v[4:5], v[38:39]
	v_mul_f64 v[4:5], v[8:9], v[18:19]
	v_fmac_f64_e32 v[4:5], v[10:11], v[16:17]
	v_add_f64 v[40:41], v[40:41], v[4:5]
	v_mov_b32_e32 v4, v43
	v_mad_u64_u32 v[4:5], s[2:3], v7, 48, v[4:5]
	v_mov_b32_e32 v43, v4
	global_load_dwordx4 v[4:7], v[42:43], off offset:32
	global_load_dwordx4 v[8:11], v[42:43], off offset:16
	global_load_dwordx4 v[16:19], v[42:43], off
	s_waitcnt vmcnt(0)
	v_mul_f64 v[42:43], v[36:37], v[18:19]
	v_fma_f64 v[42:43], v[34:35], v[16:17], -v[42:43]
	v_mul_f64 v[34:35], v[34:35], v[18:19]
	v_fmac_f64_e32 v[34:35], v[16:17], v[36:37]
	v_mul_f64 v[36:37], v[30:31], v[10:11]
	v_fma_f64 v[36:37], v[28:29], v[8:9], -v[36:37]
	v_mul_f64 v[28:29], v[28:29], v[10:11]
	v_fmac_f64_e32 v[28:29], v[8:9], v[30:31]
	v_mul_f64 v[30:31], v[26:27], v[6:7]
	v_add_f64 v[42:43], v[42:43], 0
	v_add_f64 v[34:35], v[34:35], 0
	v_fma_f64 v[30:31], v[24:25], v[4:5], -v[30:31]
	v_mul_f64 v[24:25], v[24:25], v[6:7]
	v_add_f64 v[36:37], v[42:43], v[36:37]
	v_add_f64 v[28:29], v[34:35], v[28:29]
	v_fmac_f64_e32 v[24:25], v[4:5], v[26:27]
	v_add_f64 v[30:31], v[36:37], v[30:31]
	v_add_f64 v[24:25], v[28:29], v[24:25]
	;; [unrolled: 1-line block ×4, first 2 shown]
	global_load_dwordx4 v[20:23], v[32:33], off offset:240
	global_load_dwordx4 v[24:27], v[32:33], off offset:224
	;; [unrolled: 1-line block ×4, first 2 shown]
	s_waitcnt vmcnt(0)
	v_mul_f64 v[46:47], v[18:19], v[44:45]
	v_mul_f64 v[44:45], v[16:17], v[44:45]
	v_fmac_f64_e32 v[44:45], v[18:19], v[42:43]
	v_fma_f64 v[46:47], v[16:17], v[42:43], -v[46:47]
	v_add_f64 v[42:43], v[44:45], 0
	v_mul_f64 v[44:45], v[10:11], v[30:31]
	v_mul_f64 v[30:31], v[8:9], v[30:31]
	v_fmac_f64_e32 v[30:31], v[10:11], v[28:29]
	v_add_f64 v[46:47], v[46:47], 0
	v_fma_f64 v[44:45], v[8:9], v[28:29], -v[44:45]
	v_add_f64 v[28:29], v[42:43], v[30:31]
	v_mul_f64 v[30:31], v[6:7], v[26:27]
	v_add_f64 v[44:45], v[46:47], v[44:45]
	v_fma_f64 v[30:31], v[4:5], v[24:25], -v[30:31]
	v_add_f64 v[30:31], v[44:45], v[30:31]
	v_mul_f64 v[26:27], v[4:5], v[26:27]
	v_fmac_f64_e32 v[26:27], v[6:7], v[24:25]
	v_add_f64 v[24:25], v[12:13], v[30:31]
	v_mul_f64 v[12:13], v[18:19], v[22:23]
	v_fma_f64 v[12:13], v[16:17], v[20:21], -v[12:13]
	v_add_f64 v[42:43], v[12:13], 0
	v_mul_f64 v[12:13], v[16:17], v[22:23]
	v_add_f64 v[26:27], v[28:29], v[26:27]
	v_fmac_f64_e32 v[12:13], v[18:19], v[20:21]
	v_add_f64 v[26:27], v[26:27], v[14:15]
	v_add_f64 v[44:45], v[12:13], 0
	global_load_dwordx4 v[12:15], v[32:33], off offset:304
	global_load_dwordx4 v[16:19], v[32:33], off offset:288
	;; [unrolled: 1-line block ×4, first 2 shown]
	s_waitcnt vmcnt(0)
	v_mul_f64 v[46:47], v[10:11], v[30:31]
	v_fma_f64 v[46:47], v[8:9], v[28:29], -v[46:47]
	v_mul_f64 v[8:9], v[8:9], v[30:31]
	v_fmac_f64_e32 v[8:9], v[10:11], v[28:29]
	v_mul_f64 v[10:11], v[6:7], v[22:23]
	v_fma_f64 v[10:11], v[4:5], v[20:21], -v[10:11]
	v_mul_f64 v[4:5], v[4:5], v[22:23]
	v_add_f64 v[8:9], v[44:45], v[8:9]
	v_fmac_f64_e32 v[4:5], v[6:7], v[20:21]
	v_add_f64 v[4:5], v[8:9], v[4:5]
	v_mad_u64_u32 v[8:9], s[2:3], v0, 48, s[4:5]
	v_mov_b32_e32 v0, v9
	v_add_f64 v[42:43], v[42:43], v[46:47]
	v_mad_u64_u32 v[0:1], s[2:3], v1, 48, v[0:1]
	v_add_f64 v[10:11], v[42:43], v[10:11]
	v_mov_b32_e32 v9, v0
	v_add_f64 v[42:43], v[38:39], v[10:11]
	v_add_f64 v[44:45], v[4:5], v[40:41]
	global_load_dwordx4 v[4:7], v[8:9], off offset:32
	global_load_dwordx4 v[28:31], v[8:9], off offset:16
	global_load_dwordx4 v[38:41], v[8:9], off
	s_waitcnt vmcnt(1)
	v_mul_f64 v[10:11], v[14:15], v[30:31]
	s_waitcnt vmcnt(0)
	v_mul_f64 v[0:1], v[18:19], v[40:41]
	v_fma_f64 v[0:1], v[16:17], v[38:39], -v[0:1]
	v_add_f64 v[0:1], v[0:1], 0
	v_mul_f64 v[8:9], v[16:17], v[40:41]
	v_fma_f64 v[10:11], v[12:13], v[28:29], -v[10:11]
	v_fmac_f64_e32 v[8:9], v[38:39], v[18:19]
	v_add_f64 v[0:1], v[0:1], v[10:11]
	v_mul_f64 v[10:11], v[12:13], v[30:31]
	v_add_f64 v[8:9], v[8:9], 0
	v_fmac_f64_e32 v[10:11], v[28:29], v[14:15]
	v_add_f64 v[46:47], v[8:9], v[10:11]
	global_load_dwordx4 v[8:11], v[32:33], off offset:368
	global_load_dwordx4 v[12:15], v[32:33], off offset:352
	global_load_dwordx4 v[16:19], v[32:33], off offset:336
	global_load_dwordx4 v[20:23], v[32:33], off offset:320
	s_waitcnt vmcnt(0)
	v_mul_f64 v[48:49], v[22:23], v[6:7]
	v_fma_f64 v[48:49], v[20:21], v[4:5], -v[48:49]
	v_mul_f64 v[20:21], v[20:21], v[6:7]
	v_add_f64 v[0:1], v[0:1], v[48:49]
	v_fmac_f64_e32 v[20:21], v[4:5], v[22:23]
	v_add_f64 v[22:23], v[46:47], v[20:21]
	v_add_f64 v[20:21], v[34:35], v[0:1]
	v_mul_f64 v[0:1], v[40:41], v[18:19]
	v_mul_f64 v[18:19], v[38:39], v[18:19]
	v_fmac_f64_e32 v[18:19], v[40:41], v[16:17]
	v_fma_f64 v[0:1], v[38:39], v[16:17], -v[0:1]
	v_add_f64 v[16:17], v[18:19], 0
	v_mul_f64 v[18:19], v[30:31], v[14:15]
	v_mul_f64 v[14:15], v[28:29], v[14:15]
	v_fmac_f64_e32 v[14:15], v[30:31], v[12:13]
	v_fma_f64 v[18:19], v[28:29], v[12:13], -v[18:19]
	v_add_f64 v[12:13], v[16:17], v[14:15]
	v_mul_f64 v[14:15], v[6:7], v[10:11]
	v_mul_f64 v[10:11], v[4:5], v[10:11]
	v_add_f64 v[0:1], v[0:1], 0
	v_fmac_f64_e32 v[10:11], v[6:7], v[8:9]
	v_add_f64 v[0:1], v[0:1], v[18:19]
	v_fma_f64 v[14:15], v[4:5], v[8:9], -v[14:15]
	v_add_f64 v[8:9], v[12:13], v[10:11]
	v_add_f64 v[22:23], v[22:23], v[36:37]
	;; [unrolled: 1-line block ×4, first 2 shown]
	global_load_dwordx4 v[8:11], v[32:33], off offset:432
	global_load_dwordx4 v[12:15], v[32:33], off offset:416
	global_load_dwordx4 v[16:19], v[32:33], off offset:400
	global_load_dwordx4 v[34:37], v[32:33], off offset:384
	v_add_f64 v[24:25], v[24:25], v[0:1]
	s_waitcnt vmcnt(0)
	v_mul_f64 v[0:1], v[40:41], v[36:37]
	v_mul_f64 v[36:37], v[38:39], v[36:37]
	v_fmac_f64_e32 v[36:37], v[40:41], v[34:35]
	v_fma_f64 v[0:1], v[38:39], v[34:35], -v[0:1]
	v_add_f64 v[34:35], v[36:37], 0
	v_mul_f64 v[36:37], v[30:31], v[18:19]
	v_mul_f64 v[18:19], v[28:29], v[18:19]
	v_fmac_f64_e32 v[18:19], v[30:31], v[16:17]
	v_add_f64 v[0:1], v[0:1], 0
	v_fma_f64 v[36:37], v[28:29], v[16:17], -v[36:37]
	v_add_f64 v[16:17], v[34:35], v[18:19]
	v_mul_f64 v[18:19], v[6:7], v[14:15]
	v_add_f64 v[0:1], v[0:1], v[36:37]
	v_fma_f64 v[18:19], v[4:5], v[12:13], -v[18:19]
	v_mul_f64 v[4:5], v[4:5], v[14:15]
	v_add_f64 v[0:1], v[0:1], v[18:19]
	v_fmac_f64_e32 v[4:5], v[6:7], v[12:13]
	v_mad_u64_u32 v[28:29], s[2:3], v2, 48, s[4:5]
	v_add_f64 v[6:7], v[16:17], v[4:5]
	v_add_f64 v[4:5], v[42:43], v[0:1]
	v_mov_b32_e32 v0, v29
	v_add_f64 v[6:7], v[6:7], v[44:45]
	v_mad_u64_u32 v[0:1], s[2:3], v3, 48, v[0:1]
	global_store_dwordx4 v[50:51], v[4:7], off offset:32
	v_mov_b32_e32 v29, v0
	global_load_dwordx4 v[0:3], v[28:29], off offset:32
	global_load_dwordx4 v[12:15], v[28:29], off offset:16
	global_load_dwordx4 v[16:19], v[28:29], off
	s_waitcnt vmcnt(0)
	v_mul_f64 v[28:29], v[10:11], v[18:19]
	v_fma_f64 v[28:29], v[8:9], v[16:17], -v[28:29]
	v_mul_f64 v[8:9], v[8:9], v[18:19]
	v_fmac_f64_e32 v[8:9], v[16:17], v[10:11]
	v_add_f64 v[42:43], v[28:29], 0
	v_add_f64 v[44:45], v[8:9], 0
	global_load_dwordx4 v[8:11], v[32:33], off offset:496
	global_load_dwordx4 v[28:31], v[32:33], off offset:480
	;; [unrolled: 1-line block ×4, first 2 shown]
	s_waitcnt vmcnt(0)
	v_mul_f64 v[46:47], v[40:41], v[14:15]
	v_fma_f64 v[46:47], v[38:39], v[12:13], -v[46:47]
	v_mul_f64 v[38:39], v[38:39], v[14:15]
	v_fmac_f64_e32 v[38:39], v[12:13], v[40:41]
	v_mul_f64 v[40:41], v[36:37], v[2:3]
	v_fma_f64 v[40:41], v[34:35], v[0:1], -v[40:41]
	v_mul_f64 v[34:35], v[34:35], v[2:3]
	v_add_f64 v[42:43], v[42:43], v[46:47]
	v_add_f64 v[38:39], v[44:45], v[38:39]
	v_fmac_f64_e32 v[34:35], v[0:1], v[36:37]
	v_add_f64 v[40:41], v[42:43], v[40:41]
	v_add_f64 v[34:35], v[38:39], v[34:35]
	;; [unrolled: 1-line block ×4, first 2 shown]
	global_store_dwordx4 v[50:51], v[20:23], off
	s_nop 1
	v_mul_f64 v[20:21], v[18:19], v[30:31]
	v_mul_f64 v[22:23], v[16:17], v[30:31]
	v_fma_f64 v[20:21], v[16:17], v[28:29], -v[20:21]
	v_fmac_f64_e32 v[22:23], v[18:19], v[28:29]
	v_mul_f64 v[28:29], v[14:15], v[10:11]
	v_mul_f64 v[10:11], v[12:13], v[10:11]
	v_add_f64 v[20:21], v[20:21], 0
	v_add_f64 v[22:23], v[22:23], 0
	v_fma_f64 v[28:29], v[12:13], v[8:9], -v[28:29]
	v_fmac_f64_e32 v[10:11], v[14:15], v[8:9]
	v_add_f64 v[38:39], v[20:21], v[28:29]
	v_add_f64 v[40:41], v[22:23], v[10:11]
	global_load_dwordx4 v[8:11], v[32:33], off offset:560
	global_load_dwordx4 v[20:23], v[32:33], off offset:544
	;; [unrolled: 1-line block ×4, first 2 shown]
	s_waitcnt vmcnt(0)
	v_mul_f64 v[32:33], v[2:3], v[36:37]
	v_mul_f64 v[36:37], v[0:1], v[36:37]
	v_fma_f64 v[32:33], v[0:1], v[34:35], -v[32:33]
	v_fmac_f64_e32 v[36:37], v[2:3], v[34:35]
	v_add_f64 v[32:33], v[38:39], v[32:33]
	v_add_f64 v[34:35], v[40:41], v[36:37]
	;; [unrolled: 1-line block ×4, first 2 shown]
	global_store_dwordx4 v[50:51], v[24:27], off offset:16
	s_nop 1
	v_mul_f64 v[24:25], v[18:19], v[30:31]
	v_fma_f64 v[24:25], v[16:17], v[28:29], -v[24:25]
	v_mul_f64 v[16:17], v[16:17], v[30:31]
	v_fmac_f64_e32 v[16:17], v[18:19], v[28:29]
	v_mul_f64 v[18:19], v[14:15], v[22:23]
	v_fma_f64 v[18:19], v[12:13], v[20:21], -v[18:19]
	v_mul_f64 v[12:13], v[12:13], v[22:23]
	v_fmac_f64_e32 v[12:13], v[14:15], v[20:21]
	v_mul_f64 v[14:15], v[2:3], v[10:11]
	v_add_f64 v[24:25], v[24:25], 0
	v_add_f64 v[16:17], v[16:17], 0
	v_fma_f64 v[14:15], v[0:1], v[8:9], -v[14:15]
	v_mul_f64 v[0:1], v[0:1], v[10:11]
	v_add_f64 v[18:19], v[24:25], v[18:19]
	v_add_f64 v[12:13], v[16:17], v[12:13]
	v_fmac_f64_e32 v[0:1], v[2:3], v[8:9]
	v_add_f64 v[14:15], v[18:19], v[14:15]
	v_add_f64 v[0:1], v[12:13], v[0:1]
	;; [unrolled: 1-line block ×4, first 2 shown]
	v_mov_b64_e32 v[0:1], s[14:15]
	global_store_dwordx4 v[50:51], v[14:17], off offset:32
	v_mad_u64_u32 v[42:43], s[2:3], v64, s0, v[0:1]
	v_lshl_add_u64 v[0:1], s[20:21], 0, v[52:53]
	global_load_dwordx4 v[4:7], v[0:1], off offset:16
	global_load_dwordx4 v[18:21], v[0:1], off
	v_mad_u32_u24 v43, v65, s0, v43
	s_waitcnt vmcnt(0)
	v_mad_u64_u32 v[34:35], s[2:3], v18, 48, s[4:5]
	v_mov_b32_e32 v0, v35
	v_mad_u64_u32 v[0:1], s[2:3], v19, 48, v[0:1]
	v_mov_b32_e32 v35, v0
	global_load_dwordx4 v[0:3], v[42:43], off offset:48
	global_load_dwordx4 v[8:11], v[42:43], off offset:32
	;; [unrolled: 1-line block ×3, first 2 shown]
	global_load_dwordx4 v[22:25], v[42:43], off
	global_load_dwordx4 v[26:29], v[34:35], off offset:32
	global_load_dwordx4 v[30:33], v[34:35], off offset:16
	global_load_dwordx4 v[44:47], v[34:35], off
	s_waitcnt vmcnt(0)
	v_mul_f64 v[18:19], v[24:25], v[46:47]
	v_fma_f64 v[18:19], v[22:23], v[44:45], -v[18:19]
	v_mul_f64 v[22:23], v[22:23], v[46:47]
	v_fmac_f64_e32 v[22:23], v[44:45], v[24:25]
	v_mul_f64 v[24:25], v[14:15], v[32:33]
	v_fma_f64 v[24:25], v[12:13], v[30:31], -v[24:25]
	v_mul_f64 v[12:13], v[12:13], v[32:33]
	v_fmac_f64_e32 v[12:13], v[30:31], v[14:15]
	v_mul_f64 v[14:15], v[10:11], v[28:29]
	v_add_f64 v[22:23], v[22:23], 0
	v_fma_f64 v[14:15], v[8:9], v[26:27], -v[14:15]
	v_mul_f64 v[8:9], v[8:9], v[28:29]
	v_add_f64 v[12:13], v[22:23], v[12:13]
	v_fmac_f64_e32 v[8:9], v[26:27], v[10:11]
	v_add_f64 v[18:19], v[18:19], 0
	v_add_f64 v[40:41], v[12:13], v[8:9]
	v_mul_f64 v[8:9], v[46:47], v[2:3]
	v_mul_f64 v[2:3], v[44:45], v[2:3]
	v_add_f64 v[18:19], v[18:19], v[24:25]
	v_fma_f64 v[8:9], v[44:45], v[0:1], -v[8:9]
	v_fmac_f64_e32 v[2:3], v[46:47], v[0:1]
	v_add_f64 v[38:39], v[18:19], v[14:15]
	v_add_f64 v[18:19], v[8:9], 0
	;; [unrolled: 1-line block ×3, first 2 shown]
	global_load_dwordx4 v[0:3], v[42:43], off offset:112
	global_load_dwordx4 v[8:11], v[42:43], off offset:96
	;; [unrolled: 1-line block ×4, first 2 shown]
	s_waitcnt vmcnt(0)
	v_mul_f64 v[36:37], v[32:33], v[24:25]
	v_mul_f64 v[24:25], v[30:31], v[24:25]
	v_fmac_f64_e32 v[24:25], v[32:33], v[22:23]
	v_fma_f64 v[36:37], v[30:31], v[22:23], -v[36:37]
	v_add_f64 v[22:23], v[34:35], v[24:25]
	v_mul_f64 v[24:25], v[28:29], v[14:15]
	v_mul_f64 v[14:15], v[26:27], v[14:15]
	v_fma_f64 v[24:25], v[26:27], v[12:13], -v[24:25]
	v_fmac_f64_e32 v[14:15], v[28:29], v[12:13]
	v_mul_f64 v[12:13], v[46:47], v[10:11]
	v_mul_f64 v[10:11], v[44:45], v[10:11]
	v_fmac_f64_e32 v[10:11], v[46:47], v[8:9]
	v_fma_f64 v[12:13], v[44:45], v[8:9], -v[12:13]
	v_add_f64 v[8:9], v[10:11], 0
	v_mul_f64 v[10:11], v[32:33], v[2:3]
	v_mul_f64 v[2:3], v[30:31], v[2:3]
	v_add_f64 v[18:19], v[18:19], v[36:37]
	v_add_f64 v[12:13], v[12:13], 0
	v_fma_f64 v[10:11], v[30:31], v[0:1], -v[10:11]
	v_fmac_f64_e32 v[2:3], v[32:33], v[0:1]
	v_add_f64 v[34:35], v[18:19], v[24:25]
	v_add_f64 v[36:37], v[22:23], v[14:15]
	;; [unrolled: 1-line block ×4, first 2 shown]
	global_load_dwordx4 v[0:3], v[42:43], off offset:176
	global_load_dwordx4 v[8:11], v[42:43], off offset:160
	;; [unrolled: 1-line block ×4, first 2 shown]
	v_mad_u64_u32 v[44:45], s[2:3], v20, 48, s[4:5]
	s_waitcnt vmcnt(0)
	v_mul_f64 v[30:31], v[28:29], v[24:25]
	v_fma_f64 v[30:31], v[26:27], v[22:23], -v[30:31]
	v_add_f64 v[30:31], v[18:19], v[30:31]
	v_mul_f64 v[18:19], v[26:27], v[24:25]
	v_fmac_f64_e32 v[18:19], v[28:29], v[22:23]
	v_add_f64 v[32:33], v[32:33], v[18:19]
	v_mov_b32_e32 v18, v45
	v_mad_u64_u32 v[18:19], s[2:3], v21, 48, v[18:19]
	v_mov_b32_e32 v45, v18
	global_load_dwordx4 v[18:21], v[44:45], off offset:32
	global_load_dwordx4 v[22:25], v[44:45], off offset:16
	global_load_dwordx4 v[26:29], v[44:45], off
	s_waitcnt vmcnt(0)
	v_mul_f64 v[44:45], v[14:15], v[28:29]
	v_fma_f64 v[44:45], v[12:13], v[26:27], -v[44:45]
	v_mul_f64 v[12:13], v[12:13], v[28:29]
	v_fmac_f64_e32 v[12:13], v[26:27], v[14:15]
	v_mul_f64 v[14:15], v[10:11], v[24:25]
	v_fma_f64 v[14:15], v[8:9], v[22:23], -v[14:15]
	v_mul_f64 v[8:9], v[8:9], v[24:25]
	v_fmac_f64_e32 v[8:9], v[22:23], v[10:11]
	v_mul_f64 v[10:11], v[2:3], v[20:21]
	v_add_f64 v[44:45], v[44:45], 0
	v_add_f64 v[12:13], v[12:13], 0
	v_fma_f64 v[10:11], v[0:1], v[18:19], -v[10:11]
	v_mul_f64 v[0:1], v[0:1], v[20:21]
	v_add_f64 v[14:15], v[44:45], v[14:15]
	v_add_f64 v[8:9], v[12:13], v[8:9]
	v_fmac_f64_e32 v[0:1], v[18:19], v[2:3]
	v_add_f64 v[10:11], v[14:15], v[10:11]
	v_add_f64 v[0:1], v[8:9], v[0:1]
	;; [unrolled: 1-line block ×4, first 2 shown]
	global_load_dwordx4 v[0:3], v[42:43], off offset:240
	global_load_dwordx4 v[8:11], v[42:43], off offset:224
	;; [unrolled: 1-line block ×4, first 2 shown]
	s_waitcnt vmcnt(0)
	v_mul_f64 v[48:49], v[28:29], v[46:47]
	v_mul_f64 v[46:47], v[26:27], v[46:47]
	v_fmac_f64_e32 v[46:47], v[28:29], v[44:45]
	v_fma_f64 v[48:49], v[26:27], v[44:45], -v[48:49]
	v_add_f64 v[44:45], v[46:47], 0
	v_mul_f64 v[46:47], v[24:25], v[40:41]
	v_mul_f64 v[40:41], v[22:23], v[40:41]
	v_fmac_f64_e32 v[40:41], v[24:25], v[38:39]
	v_fma_f64 v[46:47], v[22:23], v[38:39], -v[46:47]
	v_add_f64 v[38:39], v[44:45], v[40:41]
	v_mul_f64 v[40:41], v[20:21], v[10:11]
	v_mul_f64 v[10:11], v[18:19], v[10:11]
	v_fmac_f64_e32 v[10:11], v[20:21], v[8:9]
	v_add_f64 v[48:49], v[48:49], 0
	v_fma_f64 v[40:41], v[18:19], v[8:9], -v[40:41]
	v_add_f64 v[8:9], v[38:39], v[10:11]
	v_add_f64 v[46:47], v[48:49], v[46:47]
	;; [unrolled: 1-line block ×3, first 2 shown]
	v_mul_f64 v[8:9], v[28:29], v[2:3]
	v_mul_f64 v[2:3], v[26:27], v[2:3]
	v_add_f64 v[40:41], v[46:47], v[40:41]
	v_fma_f64 v[8:9], v[26:27], v[0:1], -v[8:9]
	v_fmac_f64_e32 v[2:3], v[28:29], v[0:1]
	v_add_f64 v[34:35], v[34:35], v[40:41]
	v_add_f64 v[44:45], v[8:9], 0
	;; [unrolled: 1-line block ×3, first 2 shown]
	global_load_dwordx4 v[0:3], v[42:43], off offset:304
	global_load_dwordx4 v[8:11], v[42:43], off offset:288
	;; [unrolled: 1-line block ×4, first 2 shown]
	s_waitcnt vmcnt(0)
	v_mul_f64 v[48:49], v[24:25], v[40:41]
	v_fma_f64 v[48:49], v[22:23], v[38:39], -v[48:49]
	v_mul_f64 v[22:23], v[22:23], v[40:41]
	v_fmac_f64_e32 v[22:23], v[24:25], v[38:39]
	v_mul_f64 v[24:25], v[20:21], v[28:29]
	v_fma_f64 v[24:25], v[18:19], v[26:27], -v[24:25]
	v_mul_f64 v[18:19], v[18:19], v[28:29]
	v_fmac_f64_e32 v[18:19], v[20:21], v[26:27]
	v_mad_u64_u32 v[26:27], s[2:3], v4, 48, s[4:5]
	v_mov_b32_e32 v4, v27
	v_add_f64 v[44:45], v[44:45], v[48:49]
	v_add_f64 v[22:23], v[46:47], v[22:23]
	v_mad_u64_u32 v[4:5], s[2:3], v5, 48, v[4:5]
	v_add_f64 v[24:25], v[44:45], v[24:25]
	v_add_f64 v[18:19], v[22:23], v[18:19]
	v_mov_b32_e32 v27, v4
	v_add_f64 v[44:45], v[30:31], v[24:25]
	v_add_f64 v[46:47], v[32:33], v[18:19]
	global_load_dwordx4 v[18:21], v[26:27], off offset:32
	global_load_dwordx4 v[22:25], v[26:27], off offset:16
	global_load_dwordx4 v[30:33], v[26:27], off
	s_waitcnt vmcnt(0)
	v_mul_f64 v[4:5], v[10:11], v[32:33]
	v_fma_f64 v[4:5], v[8:9], v[30:31], -v[4:5]
	v_mul_f64 v[8:9], v[8:9], v[32:33]
	v_fmac_f64_e32 v[8:9], v[30:31], v[10:11]
	v_mul_f64 v[10:11], v[2:3], v[24:25]
	v_fma_f64 v[10:11], v[0:1], v[22:23], -v[10:11]
	v_mul_f64 v[0:1], v[0:1], v[24:25]
	v_add_f64 v[4:5], v[4:5], 0
	v_add_f64 v[8:9], v[8:9], 0
	v_fmac_f64_e32 v[0:1], v[22:23], v[2:3]
	v_add_f64 v[48:49], v[4:5], v[10:11]
	v_add_f64 v[0:1], v[8:9], v[0:1]
	global_load_dwordx4 v[2:5], v[42:43], off offset:368
	global_load_dwordx4 v[8:11], v[42:43], off offset:352
	;; [unrolled: 1-line block ×4, first 2 shown]
	s_waitcnt vmcnt(0)
	v_mul_f64 v[54:55], v[40:41], v[20:21]
	v_fma_f64 v[54:55], v[38:39], v[18:19], -v[54:55]
	v_mul_f64 v[38:39], v[38:39], v[20:21]
	v_fmac_f64_e32 v[38:39], v[18:19], v[40:41]
	v_add_f64 v[48:49], v[48:49], v[54:55]
	v_add_f64 v[38:39], v[0:1], v[38:39]
	;; [unrolled: 1-line block ×4, first 2 shown]
	v_mul_f64 v[12:13], v[32:33], v[28:29]
	v_mul_f64 v[14:15], v[30:31], v[28:29]
	v_fma_f64 v[12:13], v[30:31], v[26:27], -v[12:13]
	v_fmac_f64_e32 v[14:15], v[32:33], v[26:27]
	v_mul_f64 v[26:27], v[24:25], v[10:11]
	v_mul_f64 v[10:11], v[22:23], v[10:11]
	v_add_f64 v[14:15], v[14:15], 0
	v_fmac_f64_e32 v[10:11], v[24:25], v[8:9]
	v_add_f64 v[12:13], v[12:13], 0
	v_fma_f64 v[26:27], v[22:23], v[8:9], -v[26:27]
	v_add_f64 v[8:9], v[14:15], v[10:11]
	v_mul_f64 v[10:11], v[20:21], v[4:5]
	v_mul_f64 v[4:5], v[18:19], v[4:5]
	v_add_f64 v[12:13], v[12:13], v[26:27]
	v_fma_f64 v[10:11], v[18:19], v[2:3], -v[10:11]
	v_fmac_f64_e32 v[4:5], v[20:21], v[2:3]
	v_add_f64 v[10:11], v[12:13], v[10:11]
	v_add_f64 v[2:3], v[8:9], v[4:5]
	;; [unrolled: 1-line block ×4, first 2 shown]
	global_load_dwordx4 v[26:29], v[42:43], off offset:432
	global_load_dwordx4 v[2:5], v[42:43], off offset:416
	;; [unrolled: 1-line block ×4, first 2 shown]
	s_waitcnt vmcnt(0)
	v_mul_f64 v[34:35], v[32:33], v[14:15]
	v_mul_f64 v[14:15], v[30:31], v[14:15]
	v_fmac_f64_e32 v[14:15], v[32:33], v[12:13]
	v_fma_f64 v[34:35], v[30:31], v[12:13], -v[34:35]
	v_add_f64 v[12:13], v[14:15], 0
	v_mul_f64 v[14:15], v[24:25], v[10:11]
	v_mul_f64 v[10:11], v[22:23], v[10:11]
	v_fmac_f64_e32 v[10:11], v[24:25], v[8:9]
	v_add_f64 v[34:35], v[34:35], 0
	v_fma_f64 v[14:15], v[22:23], v[8:9], -v[14:15]
	v_add_f64 v[8:9], v[12:13], v[10:11]
	v_mul_f64 v[10:11], v[20:21], v[4:5]
	v_add_f64 v[14:15], v[34:35], v[14:15]
	v_fma_f64 v[10:11], v[18:19], v[2:3], -v[10:11]
	v_add_f64 v[10:11], v[14:15], v[10:11]
	v_add_f64 v[38:39], v[44:45], v[10:11]
	v_mad_u64_u32 v[44:45], s[2:3], v6, 48, s[4:5]
	v_mul_f64 v[4:5], v[18:19], v[4:5]
	v_mov_b32_e32 v6, v45
	v_fmac_f64_e32 v[4:5], v[20:21], v[2:3]
	v_mad_u64_u32 v[6:7], s[2:3], v7, 48, v[6:7]
	v_add_f64 v[2:3], v[8:9], v[4:5]
	v_lshl_add_u64 v[8:9], s[10:11], 0, v[52:53]
	v_mov_b32_e32 v45, v6
	v_add_f64 v[40:41], v[46:47], v[2:3]
	global_load_dwordx4 v[2:5], v[8:9], off offset:16
	global_load_dwordx4 v[18:21], v[8:9], off
	global_load_dwordx2 v[14:15], v[50:51], off offset:32
	global_load_dwordx4 v[10:13], v[50:51], off offset:16
	global_load_dwordx4 v[22:25], v[50:51], off
	s_nop 0
	global_load_dwordx4 v[6:9], v[44:45], off offset:32
	global_load_dwordx4 v[30:33], v[44:45], off offset:16
	global_load_dwordx4 v[34:37], v[44:45], off
	global_load_dwordx4 v[66:69], v[42:43], off offset:560
                                        ; kill: killed $vgpr44 killed $vgpr45
	global_load_dwordx4 v[70:73], v[42:43], off offset:544
	global_load_dwordx4 v[74:77], v[42:43], off offset:528
	;; [unrolled: 1-line block ×3, first 2 shown]
	s_waitcnt vmcnt(2)
	v_mul_f64 v[60:61], v[30:31], v[72:73]
	s_waitcnt vmcnt(1)
	v_mul_f64 v[44:45], v[34:35], v[76:77]
	v_fmac_f64_e32 v[44:45], v[36:37], v[74:75]
	v_add_f64 v[44:45], v[44:45], 0
	v_fmac_f64_e32 v[60:61], v[32:33], v[70:71]
	v_add_f64 v[44:45], v[44:45], v[60:61]
	v_mul_f64 v[60:61], v[6:7], v[68:69]
	v_fmac_f64_e32 v[60:61], v[8:9], v[66:67]
	v_add_f64 v[44:45], v[44:45], v[60:61]
	v_add_f64 v[60:61], v[40:41], v[44:45]
	v_mul_f64 v[40:41], v[36:37], v[76:77]
	v_fma_f64 v[40:41], v[34:35], v[74:75], -v[40:41]
	v_mul_f64 v[44:45], v[32:33], v[72:73]
	v_add_f64 v[40:41], v[40:41], 0
	v_fma_f64 v[44:45], v[30:31], v[70:71], -v[44:45]
	v_add_f64 v[40:41], v[40:41], v[44:45]
	v_mul_f64 v[44:45], v[8:9], v[68:69]
	v_fma_f64 v[44:45], v[6:7], v[66:67], -v[44:45]
	v_add_f64 v[40:41], v[40:41], v[44:45]
	v_add_f64 v[62:63], v[38:39], v[40:41]
	global_load_dwordx4 v[66:69], v[42:43], off offset:496
	global_load_dwordx4 v[70:73], v[42:43], off offset:480
	;; [unrolled: 1-line block ×3, first 2 shown]
	s_nop 0
	global_load_dwordx4 v[42:45], v[42:43], off offset:448
	v_add_f64 v[14:15], v[62:63], v[14:15]
	v_add_f64 v[16:17], v[60:61], v[16:17]
	global_store_dwordx4 v[50:51], v[14:17], off offset:32
	s_waitcnt vmcnt(4)
	v_mul_f64 v[76:77], v[30:31], v[68:69]
	s_waitcnt vmcnt(3)
	v_mul_f64 v[74:75], v[34:35], v[72:73]
	v_fmac_f64_e32 v[74:75], v[36:37], v[70:71]
	v_mul_f64 v[72:73], v[36:37], v[72:73]
	v_add_f64 v[74:75], v[74:75], 0
	v_fmac_f64_e32 v[76:77], v[32:33], v[66:67]
	v_fma_f64 v[70:71], v[34:35], v[70:71], -v[72:73]
	v_mul_f64 v[68:69], v[32:33], v[68:69]
	v_add_f64 v[74:75], v[74:75], v[76:77]
	v_mul_f64 v[76:77], v[6:7], v[48:49]
	v_add_f64 v[70:71], v[70:71], 0
	v_fma_f64 v[66:67], v[30:31], v[66:67], -v[68:69]
	v_mul_f64 v[48:49], v[8:9], v[48:49]
	v_fmac_f64_e32 v[76:77], v[8:9], v[46:47]
	v_add_f64 v[66:67], v[70:71], v[66:67]
	v_fma_f64 v[46:47], v[6:7], v[46:47], -v[48:49]
	v_add_f64 v[46:47], v[66:67], v[46:47]
	v_mul_f64 v[48:49], v[26:27], v[36:37]
	v_add_f64 v[46:47], v[56:57], v[46:47]
	v_fmac_f64_e32 v[48:49], v[34:35], v[28:29]
	s_waitcnt vmcnt(1)
	v_mul_f64 v[56:57], v[42:43], v[32:33]
	v_mul_f64 v[28:29], v[28:29], v[36:37]
	v_add_f64 v[48:49], v[48:49], 0
	v_fmac_f64_e32 v[56:57], v[30:31], v[44:45]
	v_fma_f64 v[26:27], v[26:27], v[34:35], -v[28:29]
	v_mul_f64 v[28:29], v[44:45], v[32:33]
	v_add_f64 v[48:49], v[48:49], v[56:57]
	v_mul_f64 v[56:57], v[38:39], v[8:9]
	v_add_f64 v[26:27], v[26:27], 0
	v_fma_f64 v[28:29], v[42:43], v[30:31], -v[28:29]
	v_mul_f64 v[8:9], v[40:41], v[8:9]
	v_fmac_f64_e32 v[56:57], v[6:7], v[40:41]
	v_add_f64 v[26:27], v[26:27], v[28:29]
	v_fma_f64 v[6:7], v[38:39], v[6:7], -v[8:9]
	v_add_f64 v[6:7], v[26:27], v[6:7]
	v_add_f64 v[0:1], v[0:1], v[6:7]
	;; [unrolled: 1-line block ×5, first 2 shown]
	v_mov_b64_e32 v[0:1], s[16:17]
	v_add_f64 v[58:59], v[58:59], v[74:75]
	v_add_f64 v[48:49], v[54:55], v[48:49]
	v_mad_u64_u32 v[42:43], s[2:3], v64, s0, v[0:1]
	v_mad_u64_u32 v[0:1], s[2:3], v18, 48, s[4:5]
	v_add_f64 v[8:9], v[48:49], v[24:25]
	v_add_f64 v[10:11], v[46:47], v[10:11]
	;; [unrolled: 1-line block ×3, first 2 shown]
	v_mov_b32_e32 v18, v1
	global_store_dwordx4 v[50:51], v[6:9], off
	global_store_dwordx4 v[50:51], v[10:13], off offset:16
	v_mad_u32_u24 v43, v65, s0, v43
	v_mad_u64_u32 v[18:19], s[2:3], v19, 48, v[18:19]
	v_mov_b32_e32 v1, v18
	global_load_dwordx4 v[22:25], v[42:43], off offset:48
	global_load_dwordx4 v[26:29], v[42:43], off offset:32
	;; [unrolled: 1-line block ×3, first 2 shown]
	global_load_dwordx4 v[34:37], v[42:43], off
	global_load_dwordx4 v[38:41], v[0:1], off offset:32
	global_load_dwordx4 v[58:61], v[0:1], off offset:16
	global_load_dwordx4 v[66:69], v[0:1], off
	s_waitcnt vmcnt(0)
	v_mul_f64 v[0:1], v[36:37], v[68:69]
	v_fma_f64 v[0:1], v[34:35], v[66:67], -v[0:1]
	v_mul_f64 v[18:19], v[34:35], v[68:69]
	v_mul_f64 v[34:35], v[32:33], v[60:61]
	v_fmac_f64_e32 v[18:19], v[66:67], v[36:37]
	v_fma_f64 v[34:35], v[30:31], v[58:59], -v[34:35]
	v_mul_f64 v[30:31], v[30:31], v[60:61]
	v_add_f64 v[18:19], v[18:19], 0
	v_fmac_f64_e32 v[30:31], v[58:59], v[32:33]
	v_add_f64 v[0:1], v[0:1], 0
	v_add_f64 v[18:19], v[18:19], v[30:31]
	v_mul_f64 v[30:31], v[28:29], v[40:41]
	v_add_f64 v[0:1], v[0:1], v[34:35]
	v_fma_f64 v[30:31], v[26:27], v[38:39], -v[30:31]
	v_add_f64 v[54:55], v[0:1], v[30:31]
	v_mul_f64 v[0:1], v[26:27], v[40:41]
	v_fmac_f64_e32 v[0:1], v[38:39], v[28:29]
	v_add_f64 v[56:57], v[18:19], v[0:1]
	v_mul_f64 v[0:1], v[68:69], v[24:25]
	v_mul_f64 v[18:19], v[66:67], v[24:25]
	v_fma_f64 v[0:1], v[66:67], v[22:23], -v[0:1]
	v_fmac_f64_e32 v[18:19], v[68:69], v[22:23]
	global_load_dwordx4 v[22:25], v[42:43], off offset:112
	global_load_dwordx4 v[26:29], v[42:43], off offset:96
	global_load_dwordx4 v[30:33], v[42:43], off offset:80
	global_load_dwordx4 v[34:37], v[42:43], off offset:64
	v_add_f64 v[0:1], v[0:1], 0
	v_add_f64 v[18:19], v[18:19], 0
	s_waitcnt vmcnt(0)
	v_mul_f64 v[44:45], v[60:61], v[36:37]
	v_mul_f64 v[36:37], v[58:59], v[36:37]
	v_fma_f64 v[44:45], v[58:59], v[34:35], -v[44:45]
	v_fmac_f64_e32 v[36:37], v[60:61], v[34:35]
	v_mul_f64 v[34:35], v[40:41], v[32:33]
	v_add_f64 v[0:1], v[0:1], v[44:45]
	v_fma_f64 v[34:35], v[38:39], v[30:31], -v[34:35]
	v_add_f64 v[46:47], v[0:1], v[34:35]
	v_mul_f64 v[0:1], v[38:39], v[32:33]
	v_add_f64 v[18:19], v[18:19], v[36:37]
	v_fmac_f64_e32 v[0:1], v[40:41], v[30:31]
	v_add_f64 v[48:49], v[18:19], v[0:1]
	v_mul_f64 v[0:1], v[68:69], v[28:29]
	v_mul_f64 v[18:19], v[66:67], v[28:29]
	v_fma_f64 v[0:1], v[66:67], v[26:27], -v[0:1]
	v_fmac_f64_e32 v[18:19], v[68:69], v[26:27]
	v_mul_f64 v[26:27], v[60:61], v[24:25]
	v_mul_f64 v[24:25], v[58:59], v[24:25]
	v_add_f64 v[0:1], v[0:1], 0
	v_add_f64 v[18:19], v[18:19], 0
	v_fma_f64 v[26:27], v[58:59], v[22:23], -v[26:27]
	v_fmac_f64_e32 v[24:25], v[60:61], v[22:23]
	v_add_f64 v[0:1], v[0:1], v[26:27]
	v_add_f64 v[18:19], v[18:19], v[24:25]
	global_load_dwordx4 v[22:25], v[42:43], off offset:176
	global_load_dwordx4 v[26:29], v[42:43], off offset:160
	;; [unrolled: 1-line block ×4, first 2 shown]
	v_mad_u64_u32 v[58:59], s[2:3], v20, 48, s[4:5]
	s_waitcnt vmcnt(0)
	v_mul_f64 v[44:45], v[40:41], v[36:37]
	v_mul_f64 v[36:37], v[38:39], v[36:37]
	v_fma_f64 v[44:45], v[38:39], v[34:35], -v[44:45]
	v_fmac_f64_e32 v[36:37], v[40:41], v[34:35]
	v_add_f64 v[0:1], v[0:1], v[44:45]
	v_add_f64 v[44:45], v[18:19], v[36:37]
	v_mov_b32_e32 v18, v59
	v_mad_u64_u32 v[18:19], s[2:3], v21, 48, v[18:19]
	v_mov_b32_e32 v59, v18
	global_load_dwordx4 v[18:21], v[58:59], off offset:32
	global_load_dwordx4 v[34:37], v[58:59], off offset:16
	global_load_dwordx4 v[38:41], v[58:59], off
	s_waitcnt vmcnt(0)
	v_mul_f64 v[58:59], v[32:33], v[40:41]
	v_fma_f64 v[58:59], v[30:31], v[38:39], -v[58:59]
	v_mul_f64 v[30:31], v[30:31], v[40:41]
	v_fmac_f64_e32 v[30:31], v[38:39], v[32:33]
	v_mul_f64 v[32:33], v[28:29], v[36:37]
	v_fma_f64 v[32:33], v[26:27], v[34:35], -v[32:33]
	v_mul_f64 v[26:27], v[26:27], v[36:37]
	v_fmac_f64_e32 v[26:27], v[34:35], v[28:29]
	v_mul_f64 v[28:29], v[24:25], v[20:21]
	v_add_f64 v[58:59], v[58:59], 0
	v_add_f64 v[30:31], v[30:31], 0
	v_fma_f64 v[28:29], v[22:23], v[18:19], -v[28:29]
	v_mul_f64 v[22:23], v[22:23], v[20:21]
	v_add_f64 v[32:33], v[58:59], v[32:33]
	v_add_f64 v[26:27], v[30:31], v[26:27]
	v_fmac_f64_e32 v[22:23], v[18:19], v[24:25]
	v_add_f64 v[28:29], v[32:33], v[28:29]
	v_add_f64 v[22:23], v[26:27], v[22:23]
	;; [unrolled: 1-line block ×4, first 2 shown]
	global_load_dwordx4 v[22:25], v[42:43], off offset:240
	global_load_dwordx4 v[26:29], v[42:43], off offset:224
	;; [unrolled: 1-line block ×4, first 2 shown]
	s_waitcnt vmcnt(0)
	v_mul_f64 v[62:63], v[40:41], v[60:61]
	v_mul_f64 v[60:61], v[38:39], v[60:61]
	v_fmac_f64_e32 v[60:61], v[40:41], v[58:59]
	v_fma_f64 v[62:63], v[38:39], v[58:59], -v[62:63]
	v_add_f64 v[58:59], v[60:61], 0
	v_mul_f64 v[60:61], v[36:37], v[56:57]
	v_mul_f64 v[56:57], v[34:35], v[56:57]
	v_fmac_f64_e32 v[56:57], v[36:37], v[54:55]
	v_fma_f64 v[60:61], v[34:35], v[54:55], -v[60:61]
	v_add_f64 v[54:55], v[58:59], v[56:57]
	v_mul_f64 v[56:57], v[20:21], v[28:29]
	v_mul_f64 v[28:29], v[18:19], v[28:29]
	v_fmac_f64_e32 v[28:29], v[20:21], v[26:27]
	v_add_f64 v[62:63], v[62:63], 0
	v_fma_f64 v[56:57], v[18:19], v[26:27], -v[56:57]
	v_add_f64 v[26:27], v[54:55], v[28:29]
	v_add_f64 v[60:61], v[62:63], v[60:61]
	;; [unrolled: 1-line block ×3, first 2 shown]
	v_mul_f64 v[26:27], v[40:41], v[24:25]
	v_mul_f64 v[24:25], v[38:39], v[24:25]
	v_add_f64 v[56:57], v[60:61], v[56:57]
	v_fma_f64 v[26:27], v[38:39], v[22:23], -v[26:27]
	v_fmac_f64_e32 v[24:25], v[40:41], v[22:23]
	v_add_f64 v[46:47], v[46:47], v[56:57]
	v_add_f64 v[58:59], v[26:27], 0
	;; [unrolled: 1-line block ×3, first 2 shown]
	global_load_dwordx4 v[22:25], v[42:43], off offset:304
	global_load_dwordx4 v[26:29], v[42:43], off offset:288
	;; [unrolled: 1-line block ×4, first 2 shown]
	s_waitcnt vmcnt(0)
	v_mul_f64 v[62:63], v[36:37], v[56:57]
	v_fma_f64 v[62:63], v[34:35], v[54:55], -v[62:63]
	v_mul_f64 v[34:35], v[34:35], v[56:57]
	v_fmac_f64_e32 v[34:35], v[36:37], v[54:55]
	v_mul_f64 v[36:37], v[20:21], v[40:41]
	v_add_f64 v[58:59], v[58:59], v[62:63]
	v_fma_f64 v[36:37], v[18:19], v[38:39], -v[36:37]
	v_mul_f64 v[18:19], v[18:19], v[40:41]
	v_add_f64 v[36:37], v[58:59], v[36:37]
	v_fmac_f64_e32 v[18:19], v[20:21], v[38:39]
	v_mad_u64_u32 v[38:39], s[2:3], v2, 48, s[4:5]
	v_add_f64 v[62:63], v[0:1], v[36:37]
	v_mov_b32_e32 v0, v39
	v_add_f64 v[34:35], v[60:61], v[34:35]
	v_mad_u64_u32 v[0:1], s[2:3], v3, 48, v[0:1]
	v_add_f64 v[18:19], v[34:35], v[18:19]
	v_mov_b32_e32 v39, v0
	v_add_f64 v[44:45], v[44:45], v[18:19]
	global_load_dwordx4 v[0:3], v[38:39], off offset:32
	global_load_dwordx4 v[18:21], v[38:39], off offset:16
	global_load_dwordx4 v[34:37], v[38:39], off
	s_waitcnt vmcnt(0)
	v_mul_f64 v[38:39], v[28:29], v[36:37]
	v_fma_f64 v[38:39], v[26:27], v[34:35], -v[38:39]
	v_mul_f64 v[26:27], v[26:27], v[36:37]
	v_fmac_f64_e32 v[26:27], v[34:35], v[28:29]
	v_mul_f64 v[28:29], v[24:25], v[20:21]
	v_fma_f64 v[28:29], v[22:23], v[18:19], -v[28:29]
	v_mul_f64 v[22:23], v[22:23], v[20:21]
	v_add_f64 v[38:39], v[38:39], 0
	v_add_f64 v[26:27], v[26:27], 0
	v_fmac_f64_e32 v[22:23], v[18:19], v[24:25]
	v_add_f64 v[58:59], v[38:39], v[28:29]
	v_add_f64 v[60:61], v[26:27], v[22:23]
	global_load_dwordx4 v[22:25], v[42:43], off offset:368
	global_load_dwordx4 v[26:29], v[42:43], off offset:352
	;; [unrolled: 1-line block ×4, first 2 shown]
	s_waitcnt vmcnt(0)
	v_mul_f64 v[66:67], v[56:57], v[2:3]
	v_fma_f64 v[66:67], v[54:55], v[0:1], -v[66:67]
	v_mul_f64 v[54:55], v[54:55], v[2:3]
	v_fmac_f64_e32 v[54:55], v[0:1], v[56:57]
	v_add_f64 v[58:59], v[58:59], v[66:67]
	v_add_f64 v[56:57], v[60:61], v[54:55]
	v_add_f64 v[54:55], v[30:31], v[58:59]
	v_add_f64 v[56:57], v[32:33], v[56:57]
	v_mul_f64 v[30:31], v[36:37], v[40:41]
	v_mul_f64 v[32:33], v[34:35], v[40:41]
	v_fma_f64 v[30:31], v[34:35], v[38:39], -v[30:31]
	v_fmac_f64_e32 v[32:33], v[36:37], v[38:39]
	v_mul_f64 v[38:39], v[20:21], v[28:29]
	v_mul_f64 v[28:29], v[18:19], v[28:29]
	v_add_f64 v[32:33], v[32:33], 0
	v_fmac_f64_e32 v[28:29], v[20:21], v[26:27]
	v_add_f64 v[30:31], v[30:31], 0
	v_fma_f64 v[38:39], v[18:19], v[26:27], -v[38:39]
	v_add_f64 v[26:27], v[32:33], v[28:29]
	v_mul_f64 v[28:29], v[2:3], v[24:25]
	v_mul_f64 v[24:25], v[0:1], v[24:25]
	v_add_f64 v[30:31], v[30:31], v[38:39]
	v_fma_f64 v[28:29], v[0:1], v[22:23], -v[28:29]
	v_fmac_f64_e32 v[24:25], v[2:3], v[22:23]
	v_add_f64 v[28:29], v[30:31], v[28:29]
	v_add_f64 v[22:23], v[26:27], v[24:25]
	;; [unrolled: 1-line block ×4, first 2 shown]
	global_load_dwordx4 v[22:25], v[42:43], off offset:432
	global_load_dwordx4 v[26:29], v[42:43], off offset:416
	;; [unrolled: 1-line block ×4, first 2 shown]
	s_waitcnt vmcnt(0)
	v_mul_f64 v[46:47], v[36:37], v[40:41]
	v_fma_f64 v[46:47], v[34:35], v[38:39], -v[46:47]
	v_mul_f64 v[34:35], v[34:35], v[40:41]
	v_fmac_f64_e32 v[34:35], v[36:37], v[38:39]
	v_mul_f64 v[36:37], v[20:21], v[32:33]
	v_fma_f64 v[36:37], v[18:19], v[30:31], -v[36:37]
	v_mul_f64 v[18:19], v[18:19], v[32:33]
	v_fmac_f64_e32 v[18:19], v[20:21], v[30:31]
	v_mul_f64 v[20:21], v[2:3], v[28:29]
	v_add_f64 v[34:35], v[34:35], 0
	v_fma_f64 v[20:21], v[0:1], v[26:27], -v[20:21]
	v_mul_f64 v[0:1], v[0:1], v[28:29]
	v_add_f64 v[18:19], v[34:35], v[18:19]
	v_fmac_f64_e32 v[0:1], v[2:3], v[26:27]
	v_add_f64 v[0:1], v[18:19], v[0:1]
	v_add_f64 v[40:41], v[44:45], v[0:1]
	v_mad_u64_u32 v[44:45], s[2:3], v4, 48, s[4:5]
	v_add_f64 v[46:47], v[46:47], 0
	v_mov_b32_e32 v4, v45
	v_add_f64 v[36:37], v[46:47], v[36:37]
	v_mad_u64_u32 v[4:5], s[2:3], v5, 48, v[4:5]
	v_add_f64 v[20:21], v[36:37], v[20:21]
	v_lshl_add_u64 v[18:19], s[22:23], 0, v[52:53]
	v_mov_b32_e32 v45, v4
	v_add_f64 v[38:39], v[62:63], v[20:21]
	global_load_dwordx4 v[0:3], v[18:19], off offset:16
	s_nop 0
	global_load_dwordx4 v[18:21], v[18:19], off
	s_nop 0
	global_load_dwordx4 v[26:29], v[44:45], off offset:32
	global_load_dwordx4 v[30:33], v[44:45], off offset:16
	global_load_dwordx4 v[34:37], v[44:45], off
	global_load_dwordx4 v[66:69], v[42:43], off offset:560
	global_load_dwordx4 v[70:73], v[42:43], off offset:544
                                        ; kill: killed $vgpr44 killed $vgpr45
	global_load_dwordx4 v[74:77], v[42:43], off offset:528
	global_load_dwordx4 v[46:49], v[42:43], off offset:512
	s_waitcnt vmcnt(2)
	v_mul_f64 v[44:45], v[30:31], v[72:73]
	v_fmac_f64_e32 v[44:45], v[32:33], v[70:71]
	s_waitcnt vmcnt(1)
	v_mul_f64 v[4:5], v[34:35], v[76:77]
	v_fmac_f64_e32 v[4:5], v[36:37], v[74:75]
	v_add_f64 v[4:5], v[4:5], 0
	v_add_f64 v[4:5], v[4:5], v[44:45]
	v_mul_f64 v[44:45], v[26:27], v[68:69]
	v_fmac_f64_e32 v[44:45], v[28:29], v[66:67]
	v_add_f64 v[4:5], v[4:5], v[44:45]
	v_add_f64 v[4:5], v[40:41], v[4:5]
	v_mul_f64 v[40:41], v[36:37], v[76:77]
	v_fma_f64 v[40:41], v[34:35], v[74:75], -v[40:41]
	v_mul_f64 v[44:45], v[32:33], v[72:73]
	v_add_f64 v[40:41], v[40:41], 0
	v_fma_f64 v[44:45], v[30:31], v[70:71], -v[44:45]
	v_add_f64 v[40:41], v[40:41], v[44:45]
	v_mul_f64 v[44:45], v[28:29], v[68:69]
	v_fma_f64 v[44:45], v[26:27], v[66:67], -v[44:45]
	v_add_f64 v[40:41], v[40:41], v[44:45]
	v_add_f64 v[52:53], v[38:39], v[40:41]
	global_load_dwordx4 v[66:69], v[42:43], off offset:496
	global_load_dwordx4 v[70:73], v[42:43], off offset:480
	;; [unrolled: 1-line block ×3, first 2 shown]
	s_nop 0
	global_load_dwordx4 v[42:45], v[42:43], off offset:448
	s_waitcnt vmcnt(3)
	v_mul_f64 v[74:75], v[30:31], v[68:69]
	s_waitcnt vmcnt(2)
	v_mul_f64 v[62:63], v[34:35], v[72:73]
	v_fmac_f64_e32 v[62:63], v[36:37], v[70:71]
	v_add_f64 v[62:63], v[62:63], 0
	v_fmac_f64_e32 v[74:75], v[32:33], v[66:67]
	v_add_f64 v[62:63], v[62:63], v[74:75]
	v_mul_f64 v[74:75], v[26:27], v[48:49]
	v_fmac_f64_e32 v[74:75], v[28:29], v[46:47]
	v_add_f64 v[62:63], v[62:63], v[74:75]
	v_add_f64 v[60:61], v[60:61], v[62:63]
	v_mul_f64 v[62:63], v[36:37], v[72:73]
	v_fma_f64 v[62:63], v[34:35], v[70:71], -v[62:63]
	v_mul_f64 v[68:69], v[32:33], v[68:69]
	v_add_f64 v[62:63], v[62:63], 0
	v_fma_f64 v[66:67], v[30:31], v[66:67], -v[68:69]
	v_mul_f64 v[48:49], v[28:29], v[48:49]
	v_add_f64 v[62:63], v[62:63], v[66:67]
	;; [unrolled: 3-line block ×3, first 2 shown]
	v_fmac_f64_e32 v[48:49], v[34:35], v[24:25]
	v_mul_f64 v[24:25], v[24:25], v[36:37]
	v_add_f64 v[46:47], v[58:59], v[46:47]
	s_waitcnt vmcnt(0)
	v_mul_f64 v[58:59], v[42:43], v[32:33]
	v_fma_f64 v[22:23], v[22:23], v[34:35], -v[24:25]
	v_mul_f64 v[24:25], v[44:45], v[32:33]
	v_add_f64 v[48:49], v[48:49], 0
	v_fmac_f64_e32 v[58:59], v[30:31], v[44:45]
	v_add_f64 v[22:23], v[22:23], 0
	v_fma_f64 v[24:25], v[42:43], v[30:31], -v[24:25]
	v_add_f64 v[34:35], v[16:17], -v[4:5]
	v_mov_b64_e32 v[4:5], s[18:19]
	v_add_f64 v[48:49], v[48:49], v[58:59]
	v_mul_f64 v[58:59], v[38:39], v[28:29]
	v_add_f64 v[22:23], v[22:23], v[24:25]
	v_mul_f64 v[24:25], v[40:41], v[28:29]
	v_mad_u64_u32 v[44:45], s[2:3], v64, s0, v[4:5]
	v_fmac_f64_e32 v[58:59], v[26:27], v[40:41]
	v_fma_f64 v[24:25], v[38:39], v[26:27], -v[24:25]
	v_mad_u32_u24 v45, v65, s0, v45
	v_mad_u64_u32 v[30:31], s[0:1], v18, 48, s[4:5]
	v_add_f64 v[48:49], v[48:49], v[58:59]
	v_add_f64 v[22:23], v[22:23], v[24:25]
	v_mov_b32_e32 v4, v31
	v_add_f64 v[48:49], v[56:57], v[48:49]
	v_add_f64 v[22:23], v[54:55], v[22:23]
	v_mad_u64_u32 v[4:5], s[0:1], v19, 48, v[4:5]
	v_add_f64 v[40:41], v[6:7], -v[22:23]
	v_add_f64 v[42:43], v[8:9], -v[48:49]
	;; [unrolled: 1-line block ×5, first 2 shown]
	v_mov_b32_e32 v31, v4
	global_load_dwordx4 v[4:7], v[44:45], off offset:48
	global_load_dwordx4 v[8:11], v[44:45], off offset:32
	;; [unrolled: 1-line block ×3, first 2 shown]
	global_load_dwordx4 v[16:19], v[44:45], off
	global_load_dwordx4 v[22:25], v[30:31], off offset:32
	global_load_dwordx4 v[26:29], v[30:31], off offset:16
	global_load_dwordx4 v[56:59], v[30:31], off
	s_waitcnt vmcnt(0)
	v_mul_f64 v[30:31], v[18:19], v[58:59]
	v_fma_f64 v[30:31], v[16:17], v[56:57], -v[30:31]
	v_mul_f64 v[16:17], v[16:17], v[58:59]
	v_fmac_f64_e32 v[16:17], v[56:57], v[18:19]
	v_mul_f64 v[18:19], v[14:15], v[28:29]
	v_fma_f64 v[18:19], v[12:13], v[26:27], -v[18:19]
	v_mul_f64 v[12:13], v[12:13], v[28:29]
	v_fmac_f64_e32 v[12:13], v[26:27], v[14:15]
	v_mul_f64 v[14:15], v[10:11], v[24:25]
	v_add_f64 v[16:17], v[16:17], 0
	v_fma_f64 v[14:15], v[8:9], v[22:23], -v[14:15]
	v_mul_f64 v[8:9], v[8:9], v[24:25]
	v_add_f64 v[12:13], v[16:17], v[12:13]
	v_fmac_f64_e32 v[8:9], v[22:23], v[10:11]
	v_add_f64 v[30:31], v[30:31], 0
	v_add_f64 v[54:55], v[12:13], v[8:9]
	v_mul_f64 v[8:9], v[58:59], v[6:7]
	v_mul_f64 v[6:7], v[56:57], v[6:7]
	v_add_f64 v[18:19], v[30:31], v[18:19]
	v_fma_f64 v[8:9], v[56:57], v[4:5], -v[8:9]
	v_fmac_f64_e32 v[6:7], v[58:59], v[4:5]
	v_add_f64 v[52:53], v[18:19], v[14:15]
	v_add_f64 v[30:31], v[8:9], 0
	;; [unrolled: 1-line block ×3, first 2 shown]
	global_load_dwordx4 v[4:7], v[44:45], off offset:112
	global_load_dwordx4 v[8:11], v[44:45], off offset:96
	;; [unrolled: 1-line block ×4, first 2 shown]
	s_waitcnt vmcnt(0)
	v_mul_f64 v[48:49], v[28:29], v[18:19]
	v_mul_f64 v[18:19], v[26:27], v[18:19]
	v_fmac_f64_e32 v[18:19], v[28:29], v[16:17]
	v_fma_f64 v[48:49], v[26:27], v[16:17], -v[48:49]
	v_add_f64 v[16:17], v[46:47], v[18:19]
	v_mul_f64 v[18:19], v[24:25], v[14:15]
	v_mul_f64 v[14:15], v[22:23], v[14:15]
	v_fma_f64 v[18:19], v[22:23], v[12:13], -v[18:19]
	v_fmac_f64_e32 v[14:15], v[24:25], v[12:13]
	v_mul_f64 v[12:13], v[58:59], v[10:11]
	v_mul_f64 v[10:11], v[56:57], v[10:11]
	v_fmac_f64_e32 v[10:11], v[58:59], v[8:9]
	v_fma_f64 v[12:13], v[56:57], v[8:9], -v[12:13]
	v_add_f64 v[8:9], v[10:11], 0
	v_mul_f64 v[10:11], v[28:29], v[6:7]
	v_mul_f64 v[6:7], v[26:27], v[6:7]
	v_add_f64 v[30:31], v[30:31], v[48:49]
	v_add_f64 v[12:13], v[12:13], 0
	v_fma_f64 v[10:11], v[26:27], v[4:5], -v[10:11]
	v_fmac_f64_e32 v[6:7], v[28:29], v[4:5]
	v_add_f64 v[46:47], v[30:31], v[18:19]
	v_add_f64 v[48:49], v[16:17], v[14:15]
	v_add_f64 v[30:31], v[12:13], v[10:11]
	v_add_f64 v[26:27], v[8:9], v[6:7]
	global_load_dwordx4 v[4:7], v[44:45], off offset:176
	global_load_dwordx4 v[8:11], v[44:45], off offset:160
	;; [unrolled: 1-line block ×4, first 2 shown]
	v_mad_u64_u32 v[56:57], s[0:1], v20, 48, s[4:5]
	s_waitcnt vmcnt(0)
	v_mul_f64 v[28:29], v[24:25], v[18:19]
	v_mul_f64 v[18:19], v[22:23], v[18:19]
	v_fma_f64 v[28:29], v[22:23], v[16:17], -v[28:29]
	v_fmac_f64_e32 v[18:19], v[24:25], v[16:17]
	v_mov_b32_e32 v16, v57
	v_mad_u64_u32 v[16:17], s[0:1], v21, 48, v[16:17]
	v_mov_b32_e32 v57, v16
	v_add_f64 v[28:29], v[30:31], v[28:29]
	v_add_f64 v[30:31], v[26:27], v[18:19]
	global_load_dwordx4 v[16:19], v[56:57], off offset:32
	global_load_dwordx4 v[20:23], v[56:57], off offset:16
	global_load_dwordx4 v[24:27], v[56:57], off
	s_waitcnt vmcnt(0)
	v_mul_f64 v[56:57], v[14:15], v[26:27]
	v_fma_f64 v[56:57], v[12:13], v[24:25], -v[56:57]
	v_mul_f64 v[12:13], v[12:13], v[26:27]
	v_fmac_f64_e32 v[12:13], v[24:25], v[14:15]
	v_mul_f64 v[14:15], v[10:11], v[22:23]
	v_fma_f64 v[14:15], v[8:9], v[20:21], -v[14:15]
	v_mul_f64 v[8:9], v[8:9], v[22:23]
	v_fmac_f64_e32 v[8:9], v[20:21], v[10:11]
	v_mul_f64 v[10:11], v[6:7], v[18:19]
	v_add_f64 v[56:57], v[56:57], 0
	v_add_f64 v[12:13], v[12:13], 0
	v_fma_f64 v[10:11], v[4:5], v[16:17], -v[10:11]
	v_mul_f64 v[4:5], v[4:5], v[18:19]
	v_add_f64 v[14:15], v[56:57], v[14:15]
	v_add_f64 v[8:9], v[12:13], v[8:9]
	v_fmac_f64_e32 v[4:5], v[16:17], v[6:7]
	v_add_f64 v[10:11], v[14:15], v[10:11]
	v_add_f64 v[4:5], v[8:9], v[4:5]
	;; [unrolled: 1-line block ×4, first 2 shown]
	global_load_dwordx4 v[4:7], v[44:45], off offset:240
	global_load_dwordx4 v[8:11], v[44:45], off offset:224
	;; [unrolled: 1-line block ×4, first 2 shown]
	s_waitcnt vmcnt(0)
	v_mul_f64 v[60:61], v[26:27], v[58:59]
	v_mul_f64 v[58:59], v[24:25], v[58:59]
	v_fmac_f64_e32 v[58:59], v[26:27], v[56:57]
	v_fma_f64 v[60:61], v[24:25], v[56:57], -v[60:61]
	v_add_f64 v[56:57], v[58:59], 0
	v_mul_f64 v[58:59], v[22:23], v[54:55]
	v_mul_f64 v[54:55], v[20:21], v[54:55]
	v_fmac_f64_e32 v[54:55], v[22:23], v[52:53]
	v_add_f64 v[60:61], v[60:61], 0
	v_fma_f64 v[58:59], v[20:21], v[52:53], -v[58:59]
	v_add_f64 v[52:53], v[56:57], v[54:55]
	v_mul_f64 v[54:55], v[18:19], v[10:11]
	v_mul_f64 v[10:11], v[16:17], v[10:11]
	v_add_f64 v[58:59], v[60:61], v[58:59]
	v_fma_f64 v[54:55], v[16:17], v[8:9], -v[54:55]
	v_fmac_f64_e32 v[10:11], v[18:19], v[8:9]
	v_add_f64 v[54:55], v[58:59], v[54:55]
	v_add_f64 v[8:9], v[52:53], v[10:11]
	;; [unrolled: 1-line block ×4, first 2 shown]
	v_mul_f64 v[8:9], v[26:27], v[6:7]
	v_mul_f64 v[6:7], v[24:25], v[6:7]
	v_fma_f64 v[8:9], v[24:25], v[4:5], -v[8:9]
	v_fmac_f64_e32 v[6:7], v[26:27], v[4:5]
	v_add_f64 v[56:57], v[8:9], 0
	v_add_f64 v[58:59], v[6:7], 0
	global_load_dwordx4 v[4:7], v[44:45], off offset:304
	global_load_dwordx4 v[8:11], v[44:45], off offset:288
	;; [unrolled: 1-line block ×4, first 2 shown]
	s_waitcnt vmcnt(0)
	v_mul_f64 v[60:61], v[22:23], v[48:49]
	v_fma_f64 v[60:61], v[20:21], v[46:47], -v[60:61]
	v_mul_f64 v[20:21], v[20:21], v[48:49]
	v_fmac_f64_e32 v[20:21], v[22:23], v[46:47]
	v_mul_f64 v[22:23], v[18:19], v[26:27]
	v_add_f64 v[56:57], v[56:57], v[60:61]
	v_fma_f64 v[22:23], v[16:17], v[24:25], -v[22:23]
	v_add_f64 v[22:23], v[56:57], v[22:23]
	v_add_f64 v[56:57], v[28:29], v[22:23]
	v_mad_u64_u32 v[28:29], s[0:1], v0, 48, s[4:5]
	v_mul_f64 v[16:17], v[16:17], v[26:27]
	v_mov_b32_e32 v0, v29
	v_add_f64 v[20:21], v[58:59], v[20:21]
	v_fmac_f64_e32 v[16:17], v[18:19], v[24:25]
	v_mad_u64_u32 v[0:1], s[0:1], v1, 48, v[0:1]
	v_add_f64 v[16:17], v[20:21], v[16:17]
	v_mov_b32_e32 v29, v0
	v_add_f64 v[58:59], v[30:31], v[16:17]
	global_load_dwordx4 v[16:19], v[28:29], off offset:32
	global_load_dwordx4 v[20:23], v[28:29], off offset:16
	global_load_dwordx4 v[24:27], v[28:29], off
	s_waitcnt vmcnt(0)
	v_mul_f64 v[0:1], v[10:11], v[26:27]
	v_fma_f64 v[0:1], v[8:9], v[24:25], -v[0:1]
	v_mul_f64 v[8:9], v[8:9], v[26:27]
	v_fmac_f64_e32 v[8:9], v[24:25], v[10:11]
	v_mul_f64 v[10:11], v[6:7], v[22:23]
	v_fma_f64 v[10:11], v[4:5], v[20:21], -v[10:11]
	v_mul_f64 v[4:5], v[4:5], v[22:23]
	v_add_f64 v[0:1], v[0:1], 0
	v_add_f64 v[8:9], v[8:9], 0
	v_fmac_f64_e32 v[4:5], v[20:21], v[6:7]
	v_add_f64 v[0:1], v[0:1], v[10:11]
	v_add_f64 v[60:61], v[8:9], v[4:5]
	global_load_dwordx4 v[4:7], v[44:45], off offset:368
	global_load_dwordx4 v[8:11], v[44:45], off offset:352
	;; [unrolled: 1-line block ×4, first 2 shown]
	s_waitcnt vmcnt(0)
	v_mul_f64 v[62:63], v[48:49], v[18:19]
	v_fma_f64 v[62:63], v[46:47], v[16:17], -v[62:63]
	v_mul_f64 v[46:47], v[46:47], v[18:19]
	v_add_f64 v[0:1], v[0:1], v[62:63]
	v_fmac_f64_e32 v[46:47], v[16:17], v[48:49]
	v_add_f64 v[48:49], v[60:61], v[46:47]
	v_add_f64 v[46:47], v[12:13], v[0:1]
	v_mul_f64 v[12:13], v[24:25], v[30:31]
	v_add_f64 v[48:49], v[14:15], v[48:49]
	v_fmac_f64_e32 v[12:13], v[26:27], v[28:29]
	v_mul_f64 v[14:15], v[22:23], v[10:11]
	v_mul_f64 v[10:11], v[20:21], v[10:11]
	;; [unrolled: 1-line block ×3, first 2 shown]
	v_add_f64 v[12:13], v[12:13], 0
	v_fmac_f64_e32 v[10:11], v[22:23], v[8:9]
	v_fma_f64 v[0:1], v[24:25], v[28:29], -v[0:1]
	v_fma_f64 v[14:15], v[20:21], v[8:9], -v[14:15]
	v_add_f64 v[8:9], v[12:13], v[10:11]
	v_mul_f64 v[10:11], v[18:19], v[6:7]
	v_mul_f64 v[6:7], v[16:17], v[6:7]
	v_add_f64 v[0:1], v[0:1], 0
	v_fmac_f64_e32 v[6:7], v[18:19], v[4:5]
	v_add_f64 v[0:1], v[0:1], v[14:15]
	v_fma_f64 v[10:11], v[16:17], v[4:5], -v[10:11]
	v_add_f64 v[4:5], v[8:9], v[6:7]
	v_add_f64 v[0:1], v[0:1], v[10:11]
	;; [unrolled: 1-line block ×3, first 2 shown]
	global_load_dwordx4 v[4:7], v[44:45], off offset:432
	global_load_dwordx4 v[8:11], v[44:45], off offset:416
	;; [unrolled: 1-line block ×4, first 2 shown]
	v_add_f64 v[52:53], v[52:53], v[0:1]
	s_waitcnt vmcnt(0)
	v_mul_f64 v[0:1], v[26:27], v[30:31]
	v_fma_f64 v[0:1], v[24:25], v[28:29], -v[0:1]
	v_mul_f64 v[24:25], v[24:25], v[30:31]
	v_fmac_f64_e32 v[24:25], v[26:27], v[28:29]
	v_mul_f64 v[26:27], v[22:23], v[14:15]
	v_mul_f64 v[14:15], v[20:21], v[14:15]
	v_add_f64 v[24:25], v[24:25], 0
	v_fmac_f64_e32 v[14:15], v[22:23], v[12:13]
	v_add_f64 v[0:1], v[0:1], 0
	v_fma_f64 v[26:27], v[20:21], v[12:13], -v[26:27]
	v_add_f64 v[12:13], v[24:25], v[14:15]
	v_mul_f64 v[14:15], v[18:19], v[10:11]
	v_add_f64 v[0:1], v[0:1], v[26:27]
	v_fma_f64 v[14:15], v[16:17], v[8:9], -v[14:15]
	v_add_f64 v[0:1], v[0:1], v[14:15]
	v_mad_u64_u32 v[24:25], s[0:1], v2, 48, s[4:5]
	v_mul_f64 v[10:11], v[16:17], v[10:11]
	v_add_f64 v[20:21], v[56:57], v[0:1]
	v_mov_b32_e32 v0, v25
	v_fmac_f64_e32 v[10:11], v[18:19], v[8:9]
	v_mad_u64_u32 v[0:1], s[0:1], v3, 48, v[0:1]
	v_add_f64 v[8:9], v[12:13], v[10:11]
	v_mov_b32_e32 v25, v0
	v_add_f64 v[22:23], v[58:59], v[8:9]
	global_load_dwordx4 v[0:3], v[24:25], off offset:32
	global_load_dwordx4 v[8:11], v[24:25], off offset:16
	global_load_dwordx4 v[12:15], v[24:25], off
	global_load_dwordx4 v[26:29], v[44:45], off offset:560
	global_load_dwordx4 v[58:61], v[44:45], off offset:544
	;; [unrolled: 1-line block ×4, first 2 shown]
	s_waitcnt vmcnt(2)
	v_mul_f64 v[30:31], v[8:9], v[60:61]
	s_waitcnt vmcnt(1)
	v_mul_f64 v[24:25], v[12:13], v[64:65]
	v_fmac_f64_e32 v[24:25], v[14:15], v[62:63]
	v_add_f64 v[24:25], v[24:25], 0
	v_fmac_f64_e32 v[30:31], v[10:11], v[58:59]
	v_add_f64 v[24:25], v[24:25], v[30:31]
	v_mul_f64 v[30:31], v[0:1], v[28:29]
	v_fmac_f64_e32 v[30:31], v[2:3], v[26:27]
	v_add_f64 v[24:25], v[24:25], v[30:31]
	v_add_f64 v[56:57], v[22:23], v[24:25]
	v_mul_f64 v[22:23], v[14:15], v[64:65]
	v_fma_f64 v[22:23], v[12:13], v[62:63], -v[22:23]
	v_mul_f64 v[24:25], v[10:11], v[60:61]
	v_add_f64 v[22:23], v[22:23], 0
	v_fma_f64 v[24:25], v[8:9], v[58:59], -v[24:25]
	v_add_f64 v[22:23], v[22:23], v[24:25]
	v_mul_f64 v[24:25], v[2:3], v[28:29]
	v_fma_f64 v[24:25], v[0:1], v[26:27], -v[24:25]
	v_add_f64 v[22:23], v[22:23], v[24:25]
	v_add_f64 v[58:59], v[20:21], v[22:23]
	global_load_dwordx4 v[20:23], v[44:45], off offset:496
	global_load_dwordx4 v[60:63], v[44:45], off offset:480
	;; [unrolled: 1-line block ×4, first 2 shown]
	s_waitcnt vmcnt(3)
	v_mul_f64 v[64:65], v[8:9], v[22:23]
	s_waitcnt vmcnt(2)
	v_mul_f64 v[44:45], v[12:13], v[62:63]
	v_fmac_f64_e32 v[44:45], v[14:15], v[60:61]
	v_add_f64 v[44:45], v[44:45], 0
	v_fmac_f64_e32 v[64:65], v[10:11], v[20:21]
	v_add_f64 v[44:45], v[44:45], v[64:65]
	v_mul_f64 v[64:65], v[0:1], v[18:19]
	v_fmac_f64_e32 v[64:65], v[2:3], v[16:17]
	v_add_f64 v[44:45], v[44:45], v[64:65]
	v_add_f64 v[44:45], v[54:55], v[44:45]
	v_mul_f64 v[54:55], v[14:15], v[62:63]
	v_fma_f64 v[54:55], v[12:13], v[60:61], -v[54:55]
	v_mul_f64 v[22:23], v[10:11], v[22:23]
	v_add_f64 v[54:55], v[54:55], 0
	v_fma_f64 v[20:21], v[8:9], v[20:21], -v[22:23]
	v_mul_f64 v[18:19], v[2:3], v[18:19]
	v_add_f64 v[20:21], v[54:55], v[20:21]
	;; [unrolled: 3-line block ×3, first 2 shown]
	v_fmac_f64_e32 v[18:19], v[12:13], v[6:7]
	s_waitcnt vmcnt(0)
	v_mul_f64 v[20:21], v[28:29], v[10:11]
	v_mul_f64 v[6:7], v[6:7], v[14:15]
	v_add_f64 v[18:19], v[18:19], 0
	v_fmac_f64_e32 v[20:21], v[8:9], v[30:31]
	v_fma_f64 v[4:5], v[4:5], v[12:13], -v[6:7]
	v_mul_f64 v[6:7], v[30:31], v[10:11]
	v_add_f64 v[18:19], v[18:19], v[20:21]
	v_mul_f64 v[20:21], v[24:25], v[2:3]
	v_add_f64 v[4:5], v[4:5], 0
	v_fma_f64 v[6:7], v[28:29], v[8:9], -v[6:7]
	v_mul_f64 v[2:3], v[26:27], v[2:3]
	v_fmac_f64_e32 v[20:21], v[0:1], v[26:27]
	v_add_f64 v[4:5], v[4:5], v[6:7]
	v_fma_f64 v[0:1], v[24:25], v[0:1], -v[2:3]
	v_add_f64 v[18:19], v[18:19], v[20:21]
	v_add_f64 v[0:1], v[4:5], v[0:1]
	;; [unrolled: 1-line block ×5, first 2 shown]
	v_add_f64 v[0:1], v[40:41], -v[0:1]
	v_add_f64 v[2:3], v[42:43], -v[18:19]
	global_store_dwordx4 v[50:51], v[0:3], off
	s_nop 1
	v_add_f64 v[0:1], v[36:37], -v[16:17]
	v_add_f64 v[2:3], v[38:39], -v[44:45]
	global_store_dwordx4 v[50:51], v[0:3], off offset:16
	s_nop 1
	v_add_f64 v[0:1], v[32:33], -v[58:59]
	v_add_f64 v[2:3], v[34:35], -v[56:57]
	global_store_dwordx4 v[50:51], v[0:3], off offset:32
.LBB1_2:
	s_endpgm
	.section	.rodata,"a",@progbits
	.p2align	6, 0x0
	.amdhsa_kernel _Z6dslashPK11dsu3_matrixS1_S1_S1_PK11dsu3_vectorPS2_PKmS7_S7_S7_i
		.amdhsa_group_segment_fixed_size 0
		.amdhsa_private_segment_fixed_size 0
		.amdhsa_kernarg_size 344
		.amdhsa_user_sgpr_count 2
		.amdhsa_user_sgpr_dispatch_ptr 0
		.amdhsa_user_sgpr_queue_ptr 0
		.amdhsa_user_sgpr_kernarg_segment_ptr 1
		.amdhsa_user_sgpr_dispatch_id 0
		.amdhsa_user_sgpr_kernarg_preload_length 0
		.amdhsa_user_sgpr_kernarg_preload_offset 0
		.amdhsa_user_sgpr_private_segment_size 0
		.amdhsa_uses_dynamic_stack 0
		.amdhsa_enable_private_segment 0
		.amdhsa_system_sgpr_workgroup_id_x 1
		.amdhsa_system_sgpr_workgroup_id_y 0
		.amdhsa_system_sgpr_workgroup_id_z 0
		.amdhsa_system_sgpr_workgroup_info 0
		.amdhsa_system_vgpr_workitem_id 0
		.amdhsa_next_free_vgpr 78
		.amdhsa_next_free_sgpr 24
		.amdhsa_accum_offset 80
		.amdhsa_reserve_vcc 1
		.amdhsa_float_round_mode_32 0
		.amdhsa_float_round_mode_16_64 0
		.amdhsa_float_denorm_mode_32 3
		.amdhsa_float_denorm_mode_16_64 3
		.amdhsa_dx10_clamp 1
		.amdhsa_ieee_mode 1
		.amdhsa_fp16_overflow 0
		.amdhsa_tg_split 0
		.amdhsa_exception_fp_ieee_invalid_op 0
		.amdhsa_exception_fp_denorm_src 0
		.amdhsa_exception_fp_ieee_div_zero 0
		.amdhsa_exception_fp_ieee_overflow 0
		.amdhsa_exception_fp_ieee_underflow 0
		.amdhsa_exception_fp_ieee_inexact 0
		.amdhsa_exception_int_div_zero 0
	.end_amdhsa_kernel
	.text
.Lfunc_end1:
	.size	_Z6dslashPK11dsu3_matrixS1_S1_S1_PK11dsu3_vectorPS2_PKmS7_S7_S7_i, .Lfunc_end1-_Z6dslashPK11dsu3_matrixS1_S1_S1_PK11dsu3_vectorPS2_PKmS7_S7_S7_i
                                        ; -- End function
	.set _Z6dslashPK11dsu3_matrixS1_S1_S1_PK11dsu3_vectorPS2_PKmS7_S7_S7_i.num_vgpr, 78
	.set _Z6dslashPK11dsu3_matrixS1_S1_S1_PK11dsu3_vectorPS2_PKmS7_S7_S7_i.num_agpr, 0
	.set _Z6dslashPK11dsu3_matrixS1_S1_S1_PK11dsu3_vectorPS2_PKmS7_S7_S7_i.numbered_sgpr, 24
	.set _Z6dslashPK11dsu3_matrixS1_S1_S1_PK11dsu3_vectorPS2_PKmS7_S7_S7_i.num_named_barrier, 0
	.set _Z6dslashPK11dsu3_matrixS1_S1_S1_PK11dsu3_vectorPS2_PKmS7_S7_S7_i.private_seg_size, 0
	.set _Z6dslashPK11dsu3_matrixS1_S1_S1_PK11dsu3_vectorPS2_PKmS7_S7_S7_i.uses_vcc, 1
	.set _Z6dslashPK11dsu3_matrixS1_S1_S1_PK11dsu3_vectorPS2_PKmS7_S7_S7_i.uses_flat_scratch, 0
	.set _Z6dslashPK11dsu3_matrixS1_S1_S1_PK11dsu3_vectorPS2_PKmS7_S7_S7_i.has_dyn_sized_stack, 0
	.set _Z6dslashPK11dsu3_matrixS1_S1_S1_PK11dsu3_vectorPS2_PKmS7_S7_S7_i.has_recursion, 0
	.set _Z6dslashPK11dsu3_matrixS1_S1_S1_PK11dsu3_vectorPS2_PKmS7_S7_S7_i.has_indirect_call, 0
	.section	.AMDGPU.csdata,"",@progbits
; Kernel info:
; codeLenInByte = 9652
; TotalNumSgprs: 30
; NumVgprs: 78
; NumAgprs: 0
; TotalNumVgprs: 78
; ScratchSize: 0
; MemoryBound: 0
; FloatMode: 240
; IeeeMode: 1
; LDSByteSize: 0 bytes/workgroup (compile time only)
; SGPRBlocks: 3
; VGPRBlocks: 9
; NumSGPRsForWavesPerEU: 30
; NumVGPRsForWavesPerEU: 78
; AccumOffset: 80
; Occupancy: 6
; WaveLimiterHint : 1
; COMPUTE_PGM_RSRC2:SCRATCH_EN: 0
; COMPUTE_PGM_RSRC2:USER_SGPR: 2
; COMPUTE_PGM_RSRC2:TRAP_HANDLER: 0
; COMPUTE_PGM_RSRC2:TGID_X_EN: 1
; COMPUTE_PGM_RSRC2:TGID_Y_EN: 0
; COMPUTE_PGM_RSRC2:TGID_Z_EN: 0
; COMPUTE_PGM_RSRC2:TIDIG_COMP_CNT: 0
; COMPUTE_PGM_RSRC3_GFX90A:ACCUM_OFFSET: 19
; COMPUTE_PGM_RSRC3_GFX90A:TG_SPLIT: 0
	.text
	.p2alignl 6, 3212836864
	.fill 256, 4, 3212836864
	.section	.AMDGPU.gpr_maximums,"",@progbits
	.set amdgpu.max_num_vgpr, 0
	.set amdgpu.max_num_agpr, 0
	.set amdgpu.max_num_sgpr, 0
	.text
	.type	__hip_cuid_4abb7f9fedefa993,@object ; @__hip_cuid_4abb7f9fedefa993
	.section	.bss,"aw",@nobits
	.globl	__hip_cuid_4abb7f9fedefa993
__hip_cuid_4abb7f9fedefa993:
	.byte	0                               ; 0x0
	.size	__hip_cuid_4abb7f9fedefa993, 1

	.ident	"AMD clang version 22.0.0git (https://github.com/RadeonOpenCompute/llvm-project roc-7.2.4 26084 f58b06dce1f9c15707c5f808fd002e18c2accf7e)"
	.section	".note.GNU-stack","",@progbits
	.addrsig
	.addrsig_sym __hip_cuid_4abb7f9fedefa993
	.amdgpu_metadata
---
amdhsa.kernels:
  - .agpr_count:     0
    .args:
      - .actual_access:  read_only
        .address_space:  global
        .offset:         0
        .size:           8
        .value_kind:     global_buffer
      - .actual_access:  read_only
        .address_space:  global
        .offset:         8
        .size:           8
        .value_kind:     global_buffer
      - .actual_access:  read_only
        .address_space:  global
        .offset:         16
        .size:           8
        .value_kind:     global_buffer
      - .actual_access:  read_only
        .address_space:  global
        .offset:         24
        .size:           8
        .value_kind:     global_buffer
      - .actual_access:  write_only
        .address_space:  global
        .offset:         32
        .size:           8
        .value_kind:     global_buffer
      - .actual_access:  write_only
        .address_space:  global
        .offset:         40
        .size:           8
        .value_kind:     global_buffer
      - .offset:         48
        .size:           4
        .value_kind:     by_value
      - .offset:         56
        .size:           4
        .value_kind:     hidden_block_count_x
      - .offset:         60
        .size:           4
        .value_kind:     hidden_block_count_y
      - .offset:         64
        .size:           4
        .value_kind:     hidden_block_count_z
      - .offset:         68
        .size:           2
        .value_kind:     hidden_group_size_x
      - .offset:         70
        .size:           2
        .value_kind:     hidden_group_size_y
      - .offset:         72
        .size:           2
        .value_kind:     hidden_group_size_z
      - .offset:         74
        .size:           2
        .value_kind:     hidden_remainder_x
      - .offset:         76
        .size:           2
        .value_kind:     hidden_remainder_y
      - .offset:         78
        .size:           2
        .value_kind:     hidden_remainder_z
      - .offset:         96
        .size:           8
        .value_kind:     hidden_global_offset_x
      - .offset:         104
        .size:           8
        .value_kind:     hidden_global_offset_y
      - .offset:         112
        .size:           8
        .value_kind:     hidden_global_offset_z
      - .offset:         120
        .size:           2
        .value_kind:     hidden_grid_dims
    .group_segment_fixed_size: 0
    .kernarg_segment_align: 8
    .kernarg_segment_size: 312
    .language:       OpenCL C
    .language_version:
      - 2
      - 0
    .max_flat_workgroup_size: 1024
    .name:           _Z9make_backPK11dsu3_matrixS1_PKmS3_PS_S4_i
    .private_segment_fixed_size: 0
    .sgpr_count:     22
    .sgpr_spill_count: 0
    .symbol:         _Z9make_backPK11dsu3_matrixS1_PKmS3_PS_S4_i.kd
    .uniform_work_group_size: 1
    .uses_dynamic_stack: false
    .vgpr_count:     62
    .vgpr_spill_count: 0
    .wavefront_size: 64
  - .agpr_count:     0
    .args:
      - .actual_access:  read_only
        .address_space:  global
        .offset:         0
        .size:           8
        .value_kind:     global_buffer
      - .actual_access:  read_only
        .address_space:  global
        .offset:         8
        .size:           8
        .value_kind:     global_buffer
      - .actual_access:  read_only
        .address_space:  global
        .offset:         16
        .size:           8
        .value_kind:     global_buffer
      - .actual_access:  read_only
        .address_space:  global
        .offset:         24
        .size:           8
        .value_kind:     global_buffer
      - .actual_access:  read_only
        .address_space:  global
        .offset:         32
        .size:           8
        .value_kind:     global_buffer
      - .address_space:  global
        .offset:         40
        .size:           8
        .value_kind:     global_buffer
      - .actual_access:  read_only
        .address_space:  global
        .offset:         48
        .size:           8
        .value_kind:     global_buffer
      - .actual_access:  read_only
        .address_space:  global
        .offset:         56
        .size:           8
        .value_kind:     global_buffer
      - .actual_access:  read_only
        .address_space:  global
        .offset:         64
        .size:           8
        .value_kind:     global_buffer
      - .actual_access:  read_only
        .address_space:  global
        .offset:         72
        .size:           8
        .value_kind:     global_buffer
      - .offset:         80
        .size:           4
        .value_kind:     by_value
      - .offset:         88
        .size:           4
        .value_kind:     hidden_block_count_x
      - .offset:         92
        .size:           4
        .value_kind:     hidden_block_count_y
      - .offset:         96
        .size:           4
        .value_kind:     hidden_block_count_z
      - .offset:         100
        .size:           2
        .value_kind:     hidden_group_size_x
      - .offset:         102
        .size:           2
        .value_kind:     hidden_group_size_y
      - .offset:         104
        .size:           2
        .value_kind:     hidden_group_size_z
      - .offset:         106
        .size:           2
        .value_kind:     hidden_remainder_x
      - .offset:         108
        .size:           2
        .value_kind:     hidden_remainder_y
      - .offset:         110
        .size:           2
        .value_kind:     hidden_remainder_z
      - .offset:         128
        .size:           8
        .value_kind:     hidden_global_offset_x
      - .offset:         136
        .size:           8
        .value_kind:     hidden_global_offset_y
      - .offset:         144
        .size:           8
        .value_kind:     hidden_global_offset_z
      - .offset:         152
        .size:           2
        .value_kind:     hidden_grid_dims
    .group_segment_fixed_size: 0
    .kernarg_segment_align: 8
    .kernarg_segment_size: 344
    .language:       OpenCL C
    .language_version:
      - 2
      - 0
    .max_flat_workgroup_size: 1024
    .name:           _Z6dslashPK11dsu3_matrixS1_S1_S1_PK11dsu3_vectorPS2_PKmS7_S7_S7_i
    .private_segment_fixed_size: 0
    .sgpr_count:     30
    .sgpr_spill_count: 0
    .symbol:         _Z6dslashPK11dsu3_matrixS1_S1_S1_PK11dsu3_vectorPS2_PKmS7_S7_S7_i.kd
    .uniform_work_group_size: 1
    .uses_dynamic_stack: false
    .vgpr_count:     78
    .vgpr_spill_count: 0
    .wavefront_size: 64
amdhsa.target:   amdgcn-amd-amdhsa--gfx950
amdhsa.version:
  - 1
  - 2
...

	.end_amdgpu_metadata
